;; amdgpu-corpus repo=ROCm/rocFFT kind=compiled arch=gfx906 opt=O3
	.text
	.amdgcn_target "amdgcn-amd-amdhsa--gfx906"
	.amdhsa_code_object_version 6
	.protected	bluestein_single_fwd_len1950_dim1_sp_op_CI_CI ; -- Begin function bluestein_single_fwd_len1950_dim1_sp_op_CI_CI
	.globl	bluestein_single_fwd_len1950_dim1_sp_op_CI_CI
	.p2align	8
	.type	bluestein_single_fwd_len1950_dim1_sp_op_CI_CI,@function
bluestein_single_fwd_len1950_dim1_sp_op_CI_CI: ; @bluestein_single_fwd_len1950_dim1_sp_op_CI_CI
; %bb.0:
	s_load_dwordx4 s[0:3], s[4:5], 0x28
	v_mul_u32_u24_e32 v1, 0x151, v0
	v_add_u32_sdwa v72, s6, v1 dst_sel:DWORD dst_unused:UNUSED_PAD src0_sel:DWORD src1_sel:WORD_1
	v_mov_b32_e32 v73, 0
	s_waitcnt lgkmcnt(0)
	v_cmp_gt_u64_e32 vcc, s[0:1], v[72:73]
	s_and_saveexec_b64 s[0:1], vcc
	s_cbranch_execz .LBB0_23
; %bb.1:
	s_load_dwordx2 s[12:13], s[4:5], 0x0
	s_load_dwordx2 s[6:7], s[4:5], 0x38
	s_movk_i32 s0, 0xc3
	v_mul_lo_u16_sdwa v1, v1, s0 dst_sel:DWORD dst_unused:UNUSED_PAD src0_sel:WORD_1 src1_sel:DWORD
	v_sub_u16_e32 v82, v0, v1
	s_movk_i32 s0, 0x96
	v_cmp_gt_u16_e64 s[0:1], s0, v82
	v_lshlrev_b32_e32 v81, 3, v82
	s_and_saveexec_b64 s[8:9], s[0:1]
	s_cbranch_execz .LBB0_3
; %bb.2:
	s_load_dwordx2 s[10:11], s[4:5], 0x18
	s_waitcnt lgkmcnt(0)
	s_load_dwordx4 s[16:19], s[10:11], 0x0
	s_waitcnt lgkmcnt(0)
	v_mad_u64_u32 v[0:1], s[10:11], s18, v72, 0
	v_mad_u64_u32 v[2:3], s[10:11], s16, v82, 0
	;; [unrolled: 1-line block ×4, first 2 shown]
	v_mov_b32_e32 v1, v4
	v_lshlrev_b64 v[0:1], 3, v[0:1]
	v_mov_b32_e32 v3, v5
	v_mov_b32_e32 v6, s3
	v_lshlrev_b64 v[2:3], 3, v[2:3]
	v_add_co_u32_e32 v0, vcc, s2, v0
	v_addc_co_u32_e32 v1, vcc, v6, v1, vcc
	v_add_co_u32_e32 v0, vcc, v0, v2
	v_addc_co_u32_e32 v1, vcc, v1, v3, vcc
	v_mov_b32_e32 v2, s13
	v_add_co_u32_e32 v48, vcc, s12, v81
	s_mul_i32 s2, s17, 0x4b0
	s_mul_hi_u32 s3, s16, 0x4b0
	v_addc_co_u32_e32 v49, vcc, 0, v2, vcc
	s_add_i32 s2, s3, s2
	s_mul_i32 s3, s16, 0x4b0
	v_mov_b32_e32 v3, s2
	v_add_co_u32_e32 v2, vcc, s3, v0
	v_addc_co_u32_e32 v3, vcc, v1, v3, vcc
	v_mov_b32_e32 v5, s2
	v_add_co_u32_e32 v4, vcc, s3, v2
	v_addc_co_u32_e32 v5, vcc, v3, v5, vcc
	v_mov_b32_e32 v7, s2
	v_add_co_u32_e32 v6, vcc, s3, v4
	v_addc_co_u32_e32 v7, vcc, v5, v7, vcc
	global_load_dwordx2 v[8:9], v[0:1], off
	global_load_dwordx2 v[10:11], v[2:3], off
	;; [unrolled: 1-line block ×4, first 2 shown]
	global_load_dwordx2 v[16:17], v81, s[12:13]
	global_load_dwordx2 v[18:19], v81, s[12:13] offset:1200
	global_load_dwordx2 v[20:21], v81, s[12:13] offset:2400
	;; [unrolled: 1-line block ×3, first 2 shown]
	v_mov_b32_e32 v1, s2
	v_add_co_u32_e32 v0, vcc, s3, v6
	v_addc_co_u32_e32 v1, vcc, v7, v1, vcc
	s_movk_i32 s10, 0x1000
	v_add_co_u32_e32 v4, vcc, s10, v48
	v_addc_co_u32_e32 v5, vcc, 0, v49, vcc
	global_load_dwordx2 v[2:3], v[0:1], off
	v_mov_b32_e32 v6, s2
	v_add_co_u32_e32 v0, vcc, s3, v0
	v_addc_co_u32_e32 v1, vcc, v1, v6, vcc
	global_load_dwordx2 v[6:7], v[0:1], off
	v_mov_b32_e32 v24, s2
	v_add_co_u32_e32 v0, vcc, s3, v0
	v_addc_co_u32_e32 v1, vcc, v1, v24, vcc
	global_load_dwordx2 v[24:25], v[0:1], off
	global_load_dwordx2 v[26:27], v[4:5], off offset:704
	global_load_dwordx2 v[28:29], v[4:5], off offset:1904
	;; [unrolled: 1-line block ×3, first 2 shown]
	v_mov_b32_e32 v4, s2
	v_add_co_u32_e32 v0, vcc, s3, v0
	v_addc_co_u32_e32 v1, vcc, v1, v4, vcc
	s_movk_i32 s10, 0x2000
	v_add_co_u32_e32 v32, vcc, s10, v48
	v_addc_co_u32_e32 v33, vcc, 0, v49, vcc
	global_load_dwordx2 v[4:5], v[0:1], off
	v_mov_b32_e32 v36, s2
	v_add_co_u32_e32 v0, vcc, s3, v0
	v_addc_co_u32_e32 v1, vcc, v1, v36, vcc
	global_load_dwordx2 v[36:37], v[0:1], off
	v_mov_b32_e32 v38, s2
	;; [unrolled: 4-line block ×3, first 2 shown]
	v_add_co_u32_e32 v0, vcc, s3, v0
	v_addc_co_u32_e32 v1, vcc, v1, v40, vcc
	global_load_dwordx2 v[34:35], v[32:33], off offset:208
	global_load_dwordx2 v[40:41], v[0:1], off
	global_load_dwordx2 v[42:43], v[32:33], off offset:1408
	global_load_dwordx2 v[44:45], v[32:33], off offset:2608
	global_load_dwordx2 v[46:47], v[32:33], off offset:3808
	v_mov_b32_e32 v32, s2
	v_add_co_u32_e32 v0, vcc, s3, v0
	v_addc_co_u32_e32 v1, vcc, v1, v32, vcc
	s_movk_i32 s10, 0x3000
	v_add_co_u32_e32 v48, vcc, s10, v48
	v_addc_co_u32_e32 v49, vcc, 0, v49, vcc
	global_load_dwordx2 v[32:33], v[0:1], off
	global_load_dwordx2 v[50:51], v[48:49], off offset:912
	v_mov_b32_e32 v52, s2
	v_add_co_u32_e32 v0, vcc, s3, v0
	v_addc_co_u32_e32 v1, vcc, v1, v52, vcc
	global_load_dwordx2 v[52:53], v[0:1], off
	global_load_dwordx2 v[54:55], v[48:49], off offset:2112
	s_waitcnt vmcnt(21)
	v_mul_f32_e32 v0, v9, v17
	v_mul_f32_e32 v1, v8, v17
	v_fmac_f32_e32 v0, v8, v16
	v_fma_f32 v1, v9, v16, -v1
	s_waitcnt vmcnt(20)
	v_mul_f32_e32 v8, v11, v19
	v_mul_f32_e32 v9, v10, v19
	v_fmac_f32_e32 v8, v10, v18
	v_fma_f32 v9, v11, v18, -v9
	ds_write2_b64 v81, v[0:1], v[8:9] offset1:150
	s_waitcnt vmcnt(19)
	v_mul_f32_e32 v0, v13, v21
	v_mul_f32_e32 v1, v12, v21
	s_waitcnt vmcnt(18)
	v_mul_f32_e32 v8, v15, v23
	v_mul_f32_e32 v9, v14, v23
	v_fmac_f32_e32 v0, v12, v20
	v_fma_f32 v1, v13, v20, -v1
	v_fmac_f32_e32 v8, v14, v22
	v_fma_f32 v9, v15, v22, -v9
	v_add_u32_e32 v10, 0x800, v81
	ds_write2_b64 v10, v[0:1], v[8:9] offset0:44 offset1:194
	s_waitcnt vmcnt(14)
	v_mul_f32_e32 v0, v3, v27
	v_mul_f32_e32 v1, v2, v27
	v_fmac_f32_e32 v0, v2, v26
	v_fma_f32 v1, v3, v26, -v1
	s_waitcnt vmcnt(13)
	v_mul_f32_e32 v2, v7, v29
	v_mul_f32_e32 v3, v6, v29
	v_fmac_f32_e32 v2, v6, v28
	v_fma_f32 v3, v7, v28, -v3
	v_add_u32_e32 v6, 0x1000, v81
	ds_write2_b64 v6, v[0:1], v[2:3] offset0:88 offset1:238
	s_waitcnt vmcnt(12)
	v_mul_f32_e32 v0, v25, v31
	v_mul_f32_e32 v1, v24, v31
	v_fmac_f32_e32 v0, v24, v30
	v_fma_f32 v1, v25, v30, -v1
	s_waitcnt vmcnt(8)
	v_mul_f32_e32 v2, v5, v35
	v_mul_f32_e32 v3, v4, v35
	v_fmac_f32_e32 v2, v4, v34
	v_fma_f32 v3, v5, v34, -v3
	v_add_u32_e32 v4, 0x1c00, v81
	ds_write2_b64 v4, v[0:1], v[2:3] offset0:4 offset1:154
	s_waitcnt vmcnt(6)
	v_mul_f32_e32 v0, v37, v43
	v_mul_f32_e32 v1, v36, v43
	s_waitcnt vmcnt(5)
	v_mul_f32_e32 v2, v39, v45
	v_mul_f32_e32 v3, v38, v45
	v_fmac_f32_e32 v0, v36, v42
	v_fma_f32 v1, v37, v42, -v1
	v_fmac_f32_e32 v2, v38, v44
	v_fma_f32 v3, v39, v44, -v3
	v_add_u32_e32 v4, 0x2400, v81
	ds_write2_b64 v4, v[0:1], v[2:3] offset0:48 offset1:198
	s_waitcnt vmcnt(4)
	v_mul_f32_e32 v0, v41, v47
	v_mul_f32_e32 v1, v40, v47
	s_waitcnt vmcnt(2)
	v_mul_f32_e32 v2, v33, v51
	v_mul_f32_e32 v3, v32, v51
	v_fmac_f32_e32 v0, v40, v46
	v_fma_f32 v1, v41, v46, -v1
	v_fmac_f32_e32 v2, v32, v50
	v_fma_f32 v3, v33, v50, -v3
	v_add_u32_e32 v4, 0x2c00, v81
	ds_write2_b64 v4, v[0:1], v[2:3] offset0:92 offset1:242
	s_waitcnt vmcnt(0)
	v_mul_f32_e32 v0, v53, v55
	v_mul_f32_e32 v1, v52, v55
	v_fmac_f32_e32 v0, v52, v54
	v_fma_f32 v1, v53, v54, -v1
	ds_write_b64 v81, v[0:1] offset:14400
.LBB0_3:
	s_or_b64 exec, exec, s[8:9]
	s_load_dwordx2 s[2:3], s[4:5], 0x20
	s_load_dwordx2 s[14:15], s[4:5], 0x8
	v_mov_b32_e32 v0, 0
	v_mov_b32_e32 v1, 0
	s_waitcnt lgkmcnt(0)
	s_barrier
	s_waitcnt lgkmcnt(0)
                                        ; implicit-def: $vgpr6
                                        ; implicit-def: $vgpr16
                                        ; implicit-def: $vgpr20
                                        ; implicit-def: $vgpr24
                                        ; implicit-def: $vgpr14
                                        ; implicit-def: $vgpr10
	s_and_saveexec_b64 s[4:5], s[0:1]
	s_cbranch_execz .LBB0_5
; %bb.4:
	v_add_u32_e32 v4, 0x800, v81
	ds_read2_b64 v[8:11], v4 offset0:44 offset1:194
	v_add_u32_e32 v4, 0x1000, v81
	ds_read2_b64 v[12:15], v4 offset0:88 offset1:238
	v_add_u32_e32 v4, 0x1c00, v81
	v_add_u32_e32 v16, 0x2400, v81
	;; [unrolled: 1-line block ×3, first 2 shown]
	ds_read2_b64 v[0:3], v81 offset1:150
	ds_read2_b64 v[4:7], v4 offset0:4 offset1:154
	ds_read2_b64 v[16:19], v16 offset0:48 offset1:198
	;; [unrolled: 1-line block ×3, first 2 shown]
	ds_read_b64 v[24:25], v81 offset:14400
.LBB0_5:
	s_or_b64 exec, exec, s[4:5]
	s_waitcnt lgkmcnt(0)
	v_sub_f32_e32 v51, v3, v25
	v_mul_f32_e32 v36, 0xbeedf032, v51
	v_add_f32_e32 v26, v24, v2
	v_sub_f32_e32 v53, v2, v24
	v_mov_b32_e32 v28, v36
	v_add_f32_e32 v27, v25, v3
	s_mov_b32 s8, 0x3f62ad3f
	v_mul_f32_e32 v38, 0xbeedf032, v53
	v_fmac_f32_e32 v28, 0x3f62ad3f, v26
	v_sub_f32_e32 v54, v9, v23
	v_add_f32_e32 v30, v28, v0
	v_fma_f32 v28, v27, s8, -v38
	v_mul_f32_e32 v39, 0xbf52af12, v54
	v_add_f32_e32 v31, v28, v1
	v_add_f32_e32 v28, v22, v8
	v_sub_f32_e32 v55, v8, v22
	v_mov_b32_e32 v32, v39
	s_mov_b32 s9, 0x3f116cb1
	v_add_f32_e32 v29, v23, v9
	v_mul_f32_e32 v41, 0xbf52af12, v55
	v_fmac_f32_e32 v32, 0x3f116cb1, v28
	v_sub_f32_e32 v58, v11, v21
	v_add_f32_e32 v32, v32, v30
	v_fma_f32 v30, v29, s9, -v41
	v_mul_f32_e32 v42, 0xbf7e222b, v58
	v_add_f32_e32 v33, v30, v31
	v_add_f32_e32 v30, v20, v10
	v_sub_f32_e32 v63, v10, v20
	v_mov_b32_e32 v34, v42
	s_mov_b32 s10, 0x3df6dbef
	v_add_f32_e32 v31, v21, v11
	v_mul_f32_e32 v43, 0xbf7e222b, v63
	v_fmac_f32_e32 v34, 0x3df6dbef, v30
	v_sub_f32_e32 v64, v13, v19
	v_add_f32_e32 v34, v34, v32
	v_fma_f32 v32, v31, s10, -v43
	v_mul_f32_e32 v44, 0xbf6f5d39, v64
	v_add_f32_e32 v35, v32, v33
	v_add_f32_e32 v32, v18, v12
	v_sub_f32_e32 v75, v12, v18
	v_mov_b32_e32 v37, v44
	s_mov_b32 s11, 0xbeb58ec6
	v_add_f32_e32 v33, v19, v13
	v_mul_f32_e32 v45, 0xbf6f5d39, v75
	v_fmac_f32_e32 v37, 0xbeb58ec6, v32
	v_sub_f32_e32 v77, v15, v17
	v_add_f32_e32 v37, v37, v34
	v_fma_f32 v34, v33, s11, -v45
	v_mul_f32_e32 v46, 0xbf29c268, v77
	v_add_f32_e32 v40, v34, v35
	v_add_f32_e32 v34, v16, v14
	v_sub_f32_e32 v78, v14, v16
	v_mov_b32_e32 v48, v46
	s_mov_b32 s17, 0xbf3f9e67
	v_add_f32_e32 v35, v17, v15
	v_mul_f32_e32 v47, 0xbf29c268, v78
	v_fmac_f32_e32 v48, 0xbf3f9e67, v34
	v_sub_f32_e32 v79, v5, v7
	v_add_f32_e32 v48, v48, v37
	v_fma_f32 v37, v35, s17, -v47
	v_mul_f32_e32 v50, 0xbe750f2a, v79
	v_add_f32_e32 v49, v37, v40
	v_add_f32_e32 v37, v6, v4
	v_mov_b32_e32 v40, v50
	v_fmac_f32_e32 v40, 0xbf788fa5, v37
	v_sub_f32_e32 v85, v4, v6
	s_mov_b32 s16, 0xbf788fa5
	v_add_f32_e32 v73, v40, v48
	v_add_f32_e32 v40, v7, v5
	v_mul_f32_e32 v52, 0xbe750f2a, v85
	v_fma_f32 v48, v40, s16, -v52
	v_mul_f32_e32 v56, 0xbf52af12, v51
	v_add_f32_e32 v74, v48, v49
	v_mov_b32_e32 v48, v56
	v_mul_f32_e32 v57, 0xbf6f5d39, v54
	v_fmac_f32_e32 v48, 0x3f116cb1, v26
	v_mov_b32_e32 v49, v57
	v_add_f32_e32 v48, v48, v0
	v_fmac_f32_e32 v49, 0xbeb58ec6, v28
	v_mul_f32_e32 v65, 0xbf52af12, v53
	v_add_f32_e32 v48, v49, v48
	v_fma_f32 v49, v27, s9, -v65
	v_mul_f32_e32 v68, 0xbf6f5d39, v55
	v_add_f32_e32 v49, v49, v1
	v_fma_f32 v59, v29, s11, -v68
	v_add_f32_e32 v49, v59, v49
	v_mul_f32_e32 v59, 0xbe750f2a, v58
	v_mov_b32_e32 v60, v59
	v_fmac_f32_e32 v60, 0xbf788fa5, v30
	v_mul_f32_e32 v69, 0xbe750f2a, v63
	v_add_f32_e32 v48, v60, v48
	v_fma_f32 v60, v31, s16, -v69
	v_add_f32_e32 v49, v60, v49
	v_mul_f32_e32 v60, 0x3f29c268, v64
	v_mov_b32_e32 v61, v60
	v_fmac_f32_e32 v61, 0xbf3f9e67, v32
	;; [unrolled: 7-line block ×4, first 2 shown]
	v_mul_f32_e32 v76, 0x3eedf032, v85
	v_add_f32_e32 v48, v66, v48
	v_fma_f32 v66, v40, s8, -v76
	v_mul_f32_e32 v80, 0xbf7e222b, v51
	v_add_f32_e32 v49, v66, v49
	v_mov_b32_e32 v66, v80
	v_mul_f32_e32 v83, 0xbe750f2a, v54
	v_fmac_f32_e32 v66, 0x3df6dbef, v26
	v_mov_b32_e32 v67, v83
	v_add_f32_e32 v66, v66, v0
	v_fmac_f32_e32 v67, 0xbf788fa5, v28
	v_mul_f32_e32 v90, 0xbf7e222b, v53
	v_add_f32_e32 v66, v67, v66
	v_fma_f32 v67, v27, s10, -v90
	v_mul_f32_e32 v91, 0xbe750f2a, v55
	v_add_f32_e32 v67, v67, v1
	v_fma_f32 v84, v29, s16, -v91
	v_mul_f32_e32 v86, 0x3f6f5d39, v58
	v_add_f32_e32 v67, v84, v67
	v_mov_b32_e32 v84, v86
	v_fmac_f32_e32 v84, 0xbeb58ec6, v30
	v_mul_f32_e32 v92, 0x3f6f5d39, v63
	v_add_f32_e32 v66, v84, v66
	v_fma_f32 v84, v31, s11, -v92
	v_mul_f32_e32 v87, 0x3eedf032, v64
	v_add_f32_e32 v67, v84, v67
	v_mov_b32_e32 v84, v87
	v_fmac_f32_e32 v84, 0x3f62ad3f, v32
	v_mul_f32_e32 v93, 0x3eedf032, v75
	v_add_f32_e32 v66, v84, v66
	v_fma_f32 v84, v33, s8, -v93
	v_mul_f32_e32 v88, 0xbf52af12, v77
	v_add_f32_e32 v67, v84, v67
	v_mov_b32_e32 v84, v88
	v_fmac_f32_e32 v84, 0x3f116cb1, v34
	v_mul_f32_e32 v94, 0xbf52af12, v78
	v_add_f32_e32 v66, v84, v66
	v_fma_f32 v84, v35, s9, -v94
	v_mul_f32_e32 v89, 0xbf29c268, v79
	v_add_f32_e32 v67, v84, v67
	v_mov_b32_e32 v84, v89
	v_fmac_f32_e32 v84, 0xbf3f9e67, v37
	v_mul_f32_e32 v95, 0xbf29c268, v85
	v_add_f32_e32 v66, v84, v66
	v_fma_f32 v84, v40, s17, -v95
	v_add_f32_e32 v67, v84, v67
	v_mul_lo_u16_e32 v84, 13, v82
	s_barrier
	s_and_saveexec_b64 s[4:5], s[0:1]
	s_cbranch_execz .LBB0_7
; %bb.6:
	v_mul_f32_e32 v100, 0xbe750f2a, v53
	v_mov_b32_e32 v96, v100
	v_mul_f32_e32 v101, 0x3eedf032, v55
	v_fmac_f32_e32 v96, 0xbf788fa5, v27
	v_mov_b32_e32 v97, v101
	v_add_f32_e32 v96, v96, v1
	v_fmac_f32_e32 v97, 0x3f62ad3f, v29
	v_mul_f32_e32 v102, 0xbf29c268, v63
	v_add_f32_e32 v96, v97, v96
	v_mov_b32_e32 v97, v102
	v_fmac_f32_e32 v97, 0xbf3f9e67, v31
	v_mul_f32_e32 v103, 0x3f52af12, v75
	v_add_f32_e32 v96, v97, v96
	v_mov_b32_e32 v97, v103
	;; [unrolled: 4-line block ×4, first 2 shown]
	v_fmac_f32_e32 v97, 0x3df6dbef, v40
	v_mul_f32_e32 v106, 0xbe750f2a, v51
	v_add_f32_e32 v97, v97, v96
	v_fma_f32 v96, v26, s16, -v106
	v_mul_f32_e32 v107, 0x3eedf032, v54
	v_add_f32_e32 v96, v96, v0
	v_fma_f32 v98, v28, s8, -v107
	;; [unrolled: 3-line block ×6, first 2 shown]
	v_mul_f32_e32 v112, 0xbf29c268, v53
	v_add_f32_e32 v96, v98, v96
	v_mov_b32_e32 v98, v112
	v_mul_f32_e32 v113, 0x3f7e222b, v55
	v_fmac_f32_e32 v98, 0xbf3f9e67, v27
	v_mov_b32_e32 v99, v113
	v_add_f32_e32 v98, v98, v1
	v_fmac_f32_e32 v99, 0x3df6dbef, v29
	v_mul_f32_e32 v114, 0xbf52af12, v63
	v_add_f32_e32 v98, v99, v98
	v_mov_b32_e32 v99, v114
	v_fmac_f32_e32 v99, 0x3f116cb1, v31
	v_mul_f32_e32 v115, 0x3e750f2a, v75
	v_add_f32_e32 v98, v99, v98
	v_mov_b32_e32 v99, v115
	v_fmac_f32_e32 v99, 0xbf788fa5, v33
	v_mul_f32_e32 v116, 0x3eedf032, v78
	v_add_f32_e32 v98, v99, v98
	v_mov_b32_e32 v99, v116
	v_fmac_f32_e32 v99, 0x3f62ad3f, v35
	v_mul_f32_e32 v117, 0xbf6f5d39, v85
	v_add_f32_e32 v98, v99, v98
	v_mov_b32_e32 v99, v117
	v_fmac_f32_e32 v99, 0xbeb58ec6, v40
	v_mul_f32_e32 v118, 0xbf29c268, v51
	v_add_f32_e32 v99, v99, v98
	v_fma_f32 v98, v26, s17, -v118
	v_mul_f32_e32 v119, 0x3f7e222b, v54
	v_add_f32_e32 v98, v98, v0
	v_fma_f32 v120, v28, s10, -v119
	v_add_f32_e32 v98, v120, v98
	v_mul_f32_e32 v120, 0xbf52af12, v58
	v_fma_f32 v121, v30, s9, -v120
	v_add_f32_e32 v98, v121, v98
	v_mul_f32_e32 v121, 0x3e750f2a, v64
	;; [unrolled: 3-line block ×5, first 2 shown]
	v_mov_b32_e32 v53, v124
	v_mul_f32_e32 v125, 0x3f29c268, v55
	v_fmac_f32_e32 v53, 0xbeb58ec6, v27
	v_mov_b32_e32 v55, v125
	v_add_f32_e32 v53, v53, v1
	v_fmac_f32_e32 v55, 0xbf3f9e67, v29
	v_mul_f32_e32 v126, 0x3eedf032, v63
	v_add_f32_e32 v53, v55, v53
	v_mov_b32_e32 v55, v126
	v_fmac_f32_e32 v55, 0x3f62ad3f, v31
	v_mul_f32_e32 v75, 0xbf7e222b, v75
	v_add_f32_e32 v53, v55, v53
	v_mov_b32_e32 v55, v75
	;; [unrolled: 4-line block ×3, first 2 shown]
	v_fmac_f32_e32 v55, 0xbf788fa5, v35
	v_mul_f32_e32 v51, 0xbf6f5d39, v51
	v_add_f32_e32 v53, v55, v53
	v_fma_f32 v55, v26, s11, -v51
	v_mul_f32_e32 v127, 0x3f29c268, v54
	v_add_f32_e32 v55, v55, v0
	v_fma_f32 v54, v28, s17, -v127
	;; [unrolled: 3-line block ×4, first 2 shown]
	v_mul_f32_e32 v77, 0x3e750f2a, v77
	v_mul_f32_e32 v85, 0x3f52af12, v85
	v_add_f32_e32 v54, v55, v54
	v_fma_f32 v55, v34, s16, -v77
	v_add_f32_e32 v55, v55, v54
	v_mov_b32_e32 v54, v85
	v_fmac_f32_e32 v54, 0x3f116cb1, v40
	v_mul_f32_e32 v79, 0x3f52af12, v79
	v_add_f32_e32 v54, v54, v53
	v_fma_f32 v53, v37, s9, -v79
	v_add_f32_e32 v53, v53, v55
	v_mul_f32_e32 v55, 0x3df6dbef, v27
	v_mul_f32_e32 v64, 0x3df6dbef, v26
	v_add_f32_e32 v55, v90, v55
	v_mul_f32_e32 v63, 0xbf788fa5, v29
	v_sub_f32_e32 v64, v64, v80
	v_mul_f32_e32 v80, 0xbf788fa5, v28
	v_add_f32_e32 v63, v91, v63
	v_add_f32_e32 v55, v55, v1
	v_sub_f32_e32 v80, v80, v83
	v_add_f32_e32 v64, v64, v0
	v_add_f32_e32 v55, v63, v55
	v_mul_f32_e32 v63, 0xbeb58ec6, v31
	v_add_f32_e32 v64, v80, v64
	v_mul_f32_e32 v80, 0xbeb58ec6, v30
	v_add_f32_e32 v63, v92, v63
	v_sub_f32_e32 v80, v80, v86
	v_add_f32_e32 v55, v63, v55
	v_mul_f32_e32 v63, 0x3f62ad3f, v33
	v_add_f32_e32 v64, v80, v64
	v_mul_f32_e32 v80, 0x3f62ad3f, v32
	v_add_f32_e32 v63, v93, v63
	v_sub_f32_e32 v80, v80, v87
	;; [unrolled: 6-line block ×3, first 2 shown]
	v_add_f32_e32 v2, v2, v0
	v_mul_f32_e32 v93, 0x3f116cb1, v27
	v_add_f32_e32 v55, v63, v55
	v_mul_f32_e32 v63, 0xbf3f9e67, v40
	;; [unrolled: 2-line block ×3, first 2 shown]
	v_add_f32_e32 v3, v3, v1
	v_add_f32_e32 v2, v8, v2
	;; [unrolled: 1-line block ×3, first 2 shown]
	v_mul_f32_e32 v88, 0xbeb58ec6, v29
	v_sub_f32_e32 v89, v64, v89
	v_add_f32_e32 v65, v65, v93
	v_add_f32_e32 v3, v9, v3
	;; [unrolled: 1-line block ×5, first 2 shown]
	v_mul_f32_e32 v89, 0xbf788fa5, v31
	v_add_f32_e32 v68, v68, v88
	v_add_f32_e32 v65, v65, v1
	;; [unrolled: 1-line block ×4, first 2 shown]
	v_mul_f32_e32 v91, 0x3f62ad3f, v27
	v_add_f32_e32 v65, v68, v65
	v_add_f32_e32 v69, v69, v89
	;; [unrolled: 1-line block ×4, first 2 shown]
	v_mul_f32_e32 v86, 0x3f116cb1, v29
	v_add_f32_e32 v65, v69, v65
	v_mul_f32_e32 v69, 0xbf3f9e67, v33
	v_add_f32_e32 v38, v38, v91
	v_add_f32_e32 v3, v15, v3
	;; [unrolled: 1-line block ×3, first 2 shown]
	v_mul_f32_e32 v80, 0x3df6dbef, v31
	v_add_f32_e32 v69, v70, v69
	v_add_f32_e32 v38, v38, v1
	v_add_f32_e32 v41, v41, v86
	v_add_f32_e32 v3, v5, v3
	v_add_f32_e32 v2, v6, v2
	v_fma_f32 v4, v27, s16, -v100
	v_fma_f32 v6, v27, s17, -v112
	v_mul_f32_e32 v68, 0xbeb58ec6, v33
	v_add_f32_e32 v65, v69, v65
	v_mul_f32_e32 v69, 0x3df6dbef, v35
	v_add_f32_e32 v38, v41, v38
	v_add_f32_e32 v41, v43, v80
	v_add_f32_e32 v3, v7, v3
	v_add_f32_e32 v4, v4, v1
	v_fma_f32 v5, v29, s8, -v101
	v_add_f32_e32 v6, v6, v1
	v_fma_f32 v7, v29, s10, -v113
	v_mul_f32_e32 v87, 0xbeb58ec6, v28
	v_add_f32_e32 v69, v71, v69
	v_mul_f32_e32 v71, 0xbf3f9e67, v35
	v_add_f32_e32 v38, v41, v38
	v_add_f32_e32 v41, v45, v68
	;; [unrolled: 1-line block ×3, first 2 shown]
	v_fma_f32 v5, v31, s17, -v102
	v_add_f32_e32 v6, v7, v6
	v_fma_f32 v7, v31, s9, -v114
	v_mul_f32_e32 v90, 0x3f62ad3f, v26
	v_sub_f32_e32 v57, v87, v57
	v_mul_f32_e32 v87, 0xbf788fa5, v40
	v_add_f32_e32 v38, v41, v38
	v_add_f32_e32 v41, v47, v71
	;; [unrolled: 1-line block ×3, first 2 shown]
	v_fma_f32 v5, v33, s9, -v103
	v_add_f32_e32 v6, v7, v6
	v_fma_f32 v7, v33, s16, -v115
	v_mul_f32_e32 v92, 0x3f116cb1, v26
	v_mul_f32_e32 v83, 0x3f116cb1, v28
	v_add_f32_e32 v38, v41, v38
	v_add_f32_e32 v41, v52, v87
	v_sub_f32_e32 v36, v90, v36
	v_add_f32_e32 v4, v5, v4
	v_fma_f32 v5, v35, s11, -v104
	v_add_f32_e32 v6, v7, v6
	v_fma_f32 v7, v35, s8, -v116
	v_fma_f32 v8, v27, s11, -v124
	v_mul_f32_e32 v94, 0x3df6dbef, v30
	v_sub_f32_e32 v56, v92, v56
	v_add_f32_e32 v43, v41, v38
	v_add_f32_e32 v36, v36, v0
	v_sub_f32_e32 v38, v83, v39
	v_add_f32_e32 v4, v5, v4
	v_fma_f32 v5, v40, s10, -v105
	v_fmac_f32_e32 v106, 0xbf788fa5, v26
	v_add_f32_e32 v6, v7, v6
	v_fma_f32 v7, v40, s11, -v117
	v_fmac_f32_e32 v118, 0xbf3f9e67, v26
	;; [unrolled: 3-line block ×3, first 2 shown]
	v_mul_f32_e32 v55, 0xbf788fa5, v30
	v_mul_f32_e32 v88, 0xbeb58ec6, v32
	v_add_f32_e32 v56, v56, v0
	v_add_f32_e32 v36, v38, v36
	v_sub_f32_e32 v38, v94, v42
	v_add_f32_e32 v3, v17, v3
	v_add_f32_e32 v2, v16, v2
	;; [unrolled: 1-line block ×4, first 2 shown]
	v_fmac_f32_e32 v107, 0x3f62ad3f, v28
	v_add_f32_e32 v7, v7, v6
	v_add_f32_e32 v6, v118, v0
	v_fmac_f32_e32 v119, 0x3df6dbef, v28
	v_add_f32_e32 v1, v8, v1
	v_fma_f32 v8, v31, s8, -v126
	v_add_f32_e32 v0, v51, v0
	v_fmac_f32_e32 v127, 0xbf3f9e67, v28
	v_mul_f32_e32 v89, 0xbf3f9e67, v32
	v_mul_f32_e32 v70, 0xbf3f9e67, v34
	v_add_f32_e32 v65, v69, v65
	v_mul_f32_e32 v69, 0x3f62ad3f, v40
	v_add_f32_e32 v57, v57, v56
	v_sub_f32_e32 v55, v55, v59
	v_add_f32_e32 v36, v38, v36
	v_sub_f32_e32 v38, v88, v44
	v_add_f32_e32 v3, v19, v3
	v_add_f32_e32 v2, v18, v2
	v_add_f32_e32 v4, v107, v4
	v_fmac_f32_e32 v108, 0xbf3f9e67, v30
	v_add_f32_e32 v6, v119, v6
	v_fmac_f32_e32 v120, 0x3f116cb1, v30
	v_add_f32_e32 v1, v8, v1
	v_fma_f32 v8, v33, s10, -v75
	v_add_f32_e32 v0, v127, v0
	v_fmac_f32_e32 v58, 0x3f62ad3f, v30
	v_add_f32_e32 v69, v76, v69
	v_mul_f32_e32 v76, 0x3df6dbef, v34
	v_mul_f32_e32 v92, 0xbf788fa5, v37
	v_add_f32_e32 v55, v55, v57
	v_sub_f32_e32 v57, v89, v60
	v_add_f32_e32 v36, v38, v36
	v_sub_f32_e32 v38, v70, v46
	v_add_f32_e32 v3, v21, v3
	v_add_f32_e32 v2, v20, v2
	;; [unrolled: 1-line block ×3, first 2 shown]
	v_fmac_f32_e32 v109, 0x3f116cb1, v32
	v_add_f32_e32 v6, v120, v6
	v_fmac_f32_e32 v121, 0xbf788fa5, v32
	v_add_f32_e32 v1, v8, v1
	v_fma_f32 v8, v35, s16, -v78
	v_add_f32_e32 v0, v58, v0
	v_fmac_f32_e32 v128, 0x3df6dbef, v32
	v_mul_f32_e32 v93, 0x3f62ad3f, v37
	v_add_f32_e32 v55, v57, v55
	v_sub_f32_e32 v57, v76, v61
	v_add_f32_e32 v36, v38, v36
	v_sub_f32_e32 v38, v92, v50
	v_add_f32_e32 v3, v23, v3
	v_add_f32_e32 v2, v22, v2
	v_add_f32_e32 v4, v109, v4
	v_fmac_f32_e32 v110, 0xbeb58ec6, v34
	v_add_f32_e32 v6, v121, v6
	v_fmac_f32_e32 v122, 0x3f62ad3f, v34
	v_add_f32_e32 v1, v8, v1
	v_fma_f32 v8, v40, s9, -v85
	v_add_f32_e32 v0, v128, v0
	v_fmac_f32_e32 v77, 0xbf788fa5, v34
	v_add_f32_e32 v55, v57, v55
	v_sub_f32_e32 v57, v93, v62
	v_add_f32_e32 v42, v38, v36
	v_add_f32_e32 v3, v25, v3
	v_add_f32_e32 v2, v24, v2
	v_add_f32_e32 v4, v110, v4
	v_fmac_f32_e32 v111, 0x3df6dbef, v37
	v_add_f32_e32 v6, v122, v6
	v_fmac_f32_e32 v123, 0xbeb58ec6, v37
	v_add_f32_e32 v1, v8, v1
	v_add_f32_e32 v0, v77, v0
	v_fmac_f32_e32 v79, 0x3f116cb1, v37
	v_lshlrev_b32_e32 v8, 3, v84
	v_add_f32_e32 v56, v69, v65
	v_add_f32_e32 v55, v57, v55
	;; [unrolled: 1-line block ×5, first 2 shown]
	ds_write2_b64 v8, v[2:3], v[42:43] offset1:1
	ds_write2_b64 v8, v[55:56], v[63:64] offset0:2 offset1:3
	ds_write2_b64 v8, v[53:54], v[98:99] offset0:4 offset1:5
	;; [unrolled: 1-line block ×5, first 2 shown]
	ds_write_b64 v8, v[73:74] offset:96
.LBB0_7:
	s_or_b64 exec, exec, s[4:5]
	s_load_dwordx4 s[8:11], s[2:3], 0x0
	s_movk_i32 s2, 0x4f
	v_mul_lo_u16_sdwa v0, v82, s2 dst_sel:DWORD dst_unused:UNUSED_PAD src0_sel:BYTE_0 src1_sel:DWORD
	v_lshrrev_b16_e32 v38, 10, v0
	v_mul_lo_u16_e32 v0, 13, v38
	s_movk_i32 s2, 0xc3
	v_sub_u16_e32 v0, v82, v0
	v_add_co_u32_e32 v32, vcc, s2, v82
	v_and_b32_e32 v39, 0xff, v0
	v_addc_co_u32_e64 v33, s[2:3], 0, 0, vcc
	v_lshlrev_b32_e32 v8, 5, v39
	s_movk_i32 s2, 0x4ec5
	s_waitcnt lgkmcnt(0)
	s_barrier
	global_load_dwordx4 v[4:7], v8, s[14:15]
	global_load_dwordx4 v[0:3], v8, s[14:15] offset:16
	v_mul_u32_u24_sdwa v8, v32, s2 dst_sel:DWORD dst_unused:UNUSED_PAD src0_sel:WORD_0 src1_sel:DWORD
	v_lshrrev_b32_e32 v40, 18, v8
	v_mul_lo_u16_e32 v8, 13, v40
	v_sub_u16_e32 v41, v32, v8
	v_lshlrev_b16_e32 v8, 2, v41
	v_lshlrev_b32_e32 v16, 3, v8
	global_load_dwordx4 v[12:15], v16, s[14:15]
	global_load_dwordx4 v[8:11], v16, s[14:15] offset:16
	v_mov_b32_e32 v16, 3
	v_lshlrev_b32_sdwa v83, v16, v82 dst_sel:DWORD dst_unused:UNUSED_PAD src0_sel:DWORD src1_sel:WORD_0
	v_add_u32_e32 v42, 0xc00, v83
	v_add_u32_e32 v43, 0x1800, v83
	ds_read2_b64 v[20:23], v42 offset0:6 offset1:201
	ds_read2_b64 v[16:19], v83 offset1:195
	v_add_u32_e32 v46, 0x2400, v83
	v_add_u32_e32 v47, 0x3000, v83
	ds_read2_b64 v[24:27], v43 offset0:12 offset1:207
	ds_read2_b64 v[28:31], v46 offset0:18 offset1:213
	;; [unrolled: 1-line block ×3, first 2 shown]
	v_mul_u32_u24_e32 v38, 0x41, v38
	s_movk_i32 s2, 0x41
	v_add_lshl_u32 v85, v38, v39, 3
	s_waitcnt vmcnt(0) lgkmcnt(0)
	s_barrier
	s_movk_i32 s3, 0xfd
	s_mov_b32 s16, 0x3f737871
	v_mul_f32_e32 v44, v21, v5
	v_mul_f32_e32 v45, v20, v5
	;; [unrolled: 1-line block ×7, first 2 shown]
	v_fma_f32 v44, v20, v4, -v44
	v_fmac_f32_e32 v45, v21, v4
	v_fma_f32 v50, v24, v6, -v50
	v_fmac_f32_e32 v51, v25, v6
	v_fma_f32 v25, v28, v0, -v52
	v_mul_f32_e32 v20, v23, v13
	v_mul_f32_e32 v21, v27, v15
	;; [unrolled: 1-line block ×3, first 2 shown]
	v_fma_f32 v28, v34, v2, -v54
	v_fmac_f32_e32 v55, v35, v2
	v_mul_f32_e32 v24, v31, v9
	v_mul_f32_e32 v56, v30, v9
	v_fma_f32 v35, v22, v12, -v20
	v_fma_f32 v58, v26, v14, -v21
	v_add_f32_e32 v20, v16, v44
	v_add_f32_e32 v21, v50, v25
	v_mul_f32_e32 v52, v22, v13
	v_mul_f32_e32 v54, v26, v15
	v_fma_f32 v59, v30, v8, -v24
	v_fmac_f32_e32 v56, v31, v8
	v_sub_f32_e32 v22, v44, v50
	v_sub_f32_e32 v24, v28, v25
	v_add_f32_e32 v26, v44, v28
	v_add_f32_e32 v31, v20, v50
	v_fma_f32 v20, -0.5, v21, v16
	v_fmac_f32_e32 v53, v29, v0
	v_fmac_f32_e32 v52, v23, v12
	v_sub_f32_e32 v23, v45, v55
	v_add_f32_e32 v21, v22, v24
	v_fma_f32 v16, -0.5, v26, v16
	v_mov_b32_e32 v22, v20
	v_mul_f32_e32 v29, v37, v11
	v_fmac_f32_e32 v54, v27, v14
	v_sub_f32_e32 v27, v51, v53
	v_fmac_f32_e32 v20, 0xbf737871, v23
	v_mov_b32_e32 v24, v16
	v_fmac_f32_e32 v22, 0x3f737871, v23
	v_fma_f32 v60, v36, v10, -v29
	v_sub_f32_e32 v29, v50, v44
	v_sub_f32_e32 v30, v25, v28
	v_fmac_f32_e32 v20, 0xbf167918, v27
	v_fmac_f32_e32 v24, 0xbf737871, v27
	v_fmac_f32_e32 v22, 0x3f167918, v27
	v_fmac_f32_e32 v16, 0x3f737871, v27
	v_fmac_f32_e32 v20, 0x3e9e377a, v21
	v_fmac_f32_e32 v24, 0x3f167918, v23
	v_fmac_f32_e32 v22, 0x3e9e377a, v21
	v_add_f32_e32 v21, v29, v30
	v_fmac_f32_e32 v16, 0xbf167918, v23
	v_fmac_f32_e32 v24, 0x3e9e377a, v21
	;; [unrolled: 1-line block ×3, first 2 shown]
	v_add_f32_e32 v21, v17, v45
	v_add_f32_e32 v21, v21, v51
	;; [unrolled: 1-line block ×6, first 2 shown]
	v_fma_f32 v21, -0.5, v21, v17
	v_add_f32_e32 v26, v26, v28
	v_sub_f32_e32 v28, v44, v28
	v_mov_b32_e32 v23, v21
	v_fmac_f32_e32 v23, 0xbf737871, v28
	v_sub_f32_e32 v29, v50, v25
	v_sub_f32_e32 v25, v45, v51
	;; [unrolled: 1-line block ×3, first 2 shown]
	v_fmac_f32_e32 v21, 0x3f737871, v28
	v_fmac_f32_e32 v23, 0xbf167918, v29
	v_add_f32_e32 v25, v25, v30
	v_fmac_f32_e32 v21, 0x3f167918, v29
	v_fmac_f32_e32 v23, 0x3e9e377a, v25
	v_fmac_f32_e32 v21, 0x3e9e377a, v25
	v_add_f32_e32 v25, v45, v55
	v_fma_f32 v17, -0.5, v25, v17
	v_mov_b32_e32 v25, v17
	v_fmac_f32_e32 v25, 0x3f737871, v29
	v_sub_f32_e32 v30, v51, v45
	v_sub_f32_e32 v31, v53, v55
	v_fmac_f32_e32 v17, 0xbf737871, v29
	v_mul_f32_e32 v57, v36, v11
	v_fmac_f32_e32 v25, 0xbf167918, v28
	v_add_f32_e32 v30, v30, v31
	v_fmac_f32_e32 v17, 0x3f167918, v28
	v_add_f32_e32 v29, v58, v59
	v_fmac_f32_e32 v57, v37, v10
	v_fmac_f32_e32 v25, 0x3e9e377a, v30
	;; [unrolled: 1-line block ×3, first 2 shown]
	v_fma_f32 v30, -0.5, v29, v18
	v_sub_f32_e32 v29, v52, v57
	v_mov_b32_e32 v34, v30
	v_fmac_f32_e32 v34, 0x3f737871, v29
	v_sub_f32_e32 v31, v54, v56
	v_sub_f32_e32 v36, v35, v58
	;; [unrolled: 1-line block ×3, first 2 shown]
	v_fmac_f32_e32 v30, 0xbf737871, v29
	v_fmac_f32_e32 v34, 0x3f167918, v31
	v_add_f32_e32 v36, v36, v37
	v_fmac_f32_e32 v30, 0xbf167918, v31
	v_fmac_f32_e32 v34, 0x3e9e377a, v36
	;; [unrolled: 1-line block ×3, first 2 shown]
	v_add_f32_e32 v36, v35, v60
	v_add_f32_e32 v28, v18, v35
	v_fma_f32 v18, -0.5, v36, v18
	v_mov_b32_e32 v36, v18
	v_fmac_f32_e32 v36, 0xbf737871, v31
	v_fmac_f32_e32 v18, 0x3f737871, v31
	v_add_f32_e32 v31, v54, v56
	v_sub_f32_e32 v37, v58, v35
	v_sub_f32_e32 v44, v59, v60
	v_fma_f32 v31, -0.5, v31, v19
	v_fmac_f32_e32 v36, 0x3f167918, v29
	v_add_f32_e32 v37, v37, v44
	v_fmac_f32_e32 v18, 0xbf167918, v29
	v_sub_f32_e32 v44, v35, v60
	v_mov_b32_e32 v35, v31
	v_fmac_f32_e32 v36, 0x3e9e377a, v37
	v_fmac_f32_e32 v18, 0x3e9e377a, v37
	;; [unrolled: 1-line block ×3, first 2 shown]
	v_sub_f32_e32 v45, v58, v59
	v_sub_f32_e32 v37, v52, v54
	;; [unrolled: 1-line block ×3, first 2 shown]
	v_fmac_f32_e32 v31, 0x3f737871, v44
	ds_write2_b64 v85, v[26:27], v[22:23] offset1:13
	ds_write2_b64 v85, v[24:25], v[16:17] offset0:26 offset1:39
	ds_write_b64 v85, v[20:21] offset:416
	v_mad_legacy_u16 v16, v40, s2, v41
	v_fmac_f32_e32 v35, 0xbf167918, v45
	v_add_f32_e32 v37, v37, v50
	v_fmac_f32_e32 v31, 0x3f167918, v45
	v_lshlrev_b32_e32 v86, 3, v16
	v_mul_lo_u16_sdwa v16, v82, s3 dst_sel:DWORD dst_unused:UNUSED_PAD src0_sel:BYTE_0 src1_sel:DWORD
	v_add_f32_e32 v28, v28, v58
	v_fmac_f32_e32 v35, 0x3e9e377a, v37
	v_fmac_f32_e32 v31, 0x3e9e377a, v37
	v_add_f32_e32 v37, v52, v57
	v_lshrrev_b16_e32 v58, 14, v16
	v_add_f32_e32 v29, v19, v52
	v_fmac_f32_e32 v19, -0.5, v37
	v_mul_lo_u16_e32 v16, 0x41, v58
	v_add_f32_e32 v29, v29, v54
	v_mov_b32_e32 v37, v19
	v_sub_u16_e32 v16, v82, v16
	v_add_f32_e32 v28, v28, v59
	v_add_f32_e32 v29, v29, v56
	v_fmac_f32_e32 v37, 0x3f737871, v45
	v_sub_f32_e32 v50, v54, v52
	v_sub_f32_e32 v51, v56, v57
	v_fmac_f32_e32 v19, 0xbf737871, v45
	v_and_b32_e32 v59, 0xff, v16
	v_mov_b32_e32 v17, s15
	v_add_f32_e32 v28, v28, v60
	v_add_f32_e32 v29, v29, v57
	v_fmac_f32_e32 v37, 0xbf167918, v44
	v_add_f32_e32 v50, v50, v51
	v_fmac_f32_e32 v19, 0x3f167918, v44
	s_movk_i32 s3, 0x48
	v_mov_b32_e32 v16, s14
	v_fmac_f32_e32 v37, 0x3e9e377a, v50
	v_fmac_f32_e32 v19, 0x3e9e377a, v50
	ds_write2_b64 v86, v[28:29], v[34:35] offset1:13
	ds_write2_b64 v86, v[36:37], v[18:19] offset0:26 offset1:39
	ds_write_b64 v86, v[30:31] offset:416
	v_mad_u64_u32 v[34:35], s[4:5], v59, s3, v[16:17]
	s_waitcnt lgkmcnt(0)
	s_barrier
	global_load_dwordx4 v[28:31], v[34:35], off offset:416
	global_load_dwordx4 v[24:27], v[34:35], off offset:432
	global_load_dwordx4 v[20:23], v[34:35], off offset:448
	global_load_dwordx4 v[16:19], v[34:35], off offset:464
	global_load_dwordx2 v[75:76], v[34:35], off offset:480
	ds_read2_b64 v[34:37], v83 offset1:195
	ds_read2_b64 v[38:41], v42 offset0:6 offset1:201
	ds_read2_b64 v[42:45], v43 offset0:12 offset1:207
	;; [unrolled: 1-line block ×4, first 2 shown]
	s_mov_b32 s5, 0x3f167918
	s_mov_b32 s4, 0xbf737871
	;; [unrolled: 1-line block ×3, first 2 shown]
	s_waitcnt vmcnt(0) lgkmcnt(0)
	s_barrier
	v_mul_f32_e32 v47, v36, v29
	v_mul_f32_e32 v46, v37, v29
	v_fmac_f32_e32 v47, v37, v28
	v_mul_f32_e32 v37, v38, v31
	v_fma_f32 v46, v36, v28, -v46
	v_mul_f32_e32 v36, v39, v31
	v_fmac_f32_e32 v37, v39, v30
	v_mul_f32_e32 v39, v40, v25
	v_fma_f32 v36, v38, v30, -v36
	;; [unrolled: 4-line block ×8, first 2 shown]
	v_mul_f32_e32 v54, v57, v76
	v_fmac_f32_e32 v55, v57, v75
	v_add_f32_e32 v57, v40, v44
	v_fma_f32 v57, -0.5, v57, v34
	v_sub_f32_e32 v60, v37, v53
	v_mov_b32_e32 v61, v57
	v_fmac_f32_e32 v61, 0x3f737871, v60
	v_sub_f32_e32 v62, v41, v45
	v_sub_f32_e32 v63, v36, v40
	;; [unrolled: 1-line block ×3, first 2 shown]
	v_fmac_f32_e32 v57, 0xbf737871, v60
	v_fmac_f32_e32 v61, 0x3f167918, v62
	v_add_f32_e32 v63, v63, v64
	v_fmac_f32_e32 v57, 0xbf167918, v62
	v_fmac_f32_e32 v61, 0x3e9e377a, v63
	;; [unrolled: 1-line block ×3, first 2 shown]
	v_add_f32_e32 v63, v36, v52
	v_fma_f32 v63, -0.5, v63, v34
	v_mov_b32_e32 v64, v63
	v_fma_f32 v54, v56, v75, -v54
	v_add_f32_e32 v56, v34, v36
	v_fmac_f32_e32 v64, 0xbf737871, v62
	v_sub_f32_e32 v34, v40, v36
	v_sub_f32_e32 v65, v44, v52
	v_fmac_f32_e32 v63, 0x3f737871, v62
	v_fmac_f32_e32 v64, 0x3f167918, v60
	v_add_f32_e32 v34, v34, v65
	v_fmac_f32_e32 v63, 0xbf167918, v60
	v_fmac_f32_e32 v64, 0x3e9e377a, v34
	;; [unrolled: 1-line block ×3, first 2 shown]
	v_add_f32_e32 v34, v35, v37
	v_add_f32_e32 v34, v34, v41
	;; [unrolled: 1-line block ×5, first 2 shown]
	v_fma_f32 v62, -0.5, v34, v35
	v_add_f32_e32 v56, v56, v40
	v_sub_f32_e32 v34, v36, v52
	v_mov_b32_e32 v65, v62
	v_add_f32_e32 v56, v56, v44
	v_fmac_f32_e32 v65, 0xbf737871, v34
	v_sub_f32_e32 v36, v40, v44
	v_sub_f32_e32 v40, v37, v41
	;; [unrolled: 1-line block ×3, first 2 shown]
	v_fmac_f32_e32 v62, 0x3f737871, v34
	v_fmac_f32_e32 v65, 0xbf167918, v36
	v_add_f32_e32 v40, v40, v44
	v_fmac_f32_e32 v62, 0x3f167918, v36
	v_fmac_f32_e32 v65, 0x3e9e377a, v40
	;; [unrolled: 1-line block ×3, first 2 shown]
	v_add_f32_e32 v40, v37, v53
	v_fma_f32 v68, -0.5, v40, v35
	v_mov_b32_e32 v69, v68
	v_fmac_f32_e32 v69, 0x3f737871, v36
	v_fmac_f32_e32 v68, 0xbf737871, v36
	;; [unrolled: 1-line block ×4, first 2 shown]
	v_add_f32_e32 v34, v46, v38
	v_add_f32_e32 v34, v34, v42
	;; [unrolled: 1-line block ×5, first 2 shown]
	v_sub_f32_e32 v35, v41, v37
	v_sub_f32_e32 v37, v45, v53
	v_fma_f32 v45, -0.5, v34, v46
	v_add_f32_e32 v35, v35, v37
	v_sub_f32_e32 v34, v39, v55
	v_mov_b32_e32 v37, v45
	v_fmac_f32_e32 v69, 0x3e9e377a, v35
	v_fmac_f32_e32 v68, 0x3e9e377a, v35
	;; [unrolled: 1-line block ×3, first 2 shown]
	v_sub_f32_e32 v35, v43, v51
	v_sub_f32_e32 v36, v38, v42
	;; [unrolled: 1-line block ×3, first 2 shown]
	v_fmac_f32_e32 v45, 0xbf737871, v34
	v_fmac_f32_e32 v37, 0x3f167918, v35
	v_add_f32_e32 v36, v36, v40
	v_fmac_f32_e32 v45, 0xbf167918, v35
	v_fmac_f32_e32 v37, 0x3e9e377a, v36
	;; [unrolled: 1-line block ×3, first 2 shown]
	v_add_f32_e32 v36, v38, v54
	v_fmac_f32_e32 v46, -0.5, v36
	v_mov_b32_e32 v41, v46
	v_fmac_f32_e32 v41, 0xbf737871, v35
	v_fmac_f32_e32 v46, 0x3f737871, v35
	v_fmac_f32_e32 v41, 0x3f167918, v34
	v_fmac_f32_e32 v46, 0xbf167918, v34
	v_add_f32_e32 v34, v47, v39
	v_add_f32_e32 v34, v34, v43
	;; [unrolled: 1-line block ×6, first 2 shown]
	v_sub_f32_e32 v36, v42, v38
	v_sub_f32_e32 v40, v50, v54
	v_fma_f32 v52, -0.5, v34, v47
	v_add_f32_e32 v36, v36, v40
	v_sub_f32_e32 v34, v38, v54
	v_mov_b32_e32 v54, v52
	v_fmac_f32_e32 v41, 0x3e9e377a, v36
	v_fmac_f32_e32 v46, 0x3e9e377a, v36
	;; [unrolled: 1-line block ×3, first 2 shown]
	v_sub_f32_e32 v35, v42, v50
	v_sub_f32_e32 v36, v39, v43
	;; [unrolled: 1-line block ×3, first 2 shown]
	v_fmac_f32_e32 v52, 0x3f737871, v34
	v_fmac_f32_e32 v54, 0xbf167918, v35
	v_add_f32_e32 v36, v36, v38
	v_fmac_f32_e32 v52, 0x3f167918, v35
	v_fmac_f32_e32 v54, 0x3e9e377a, v36
	;; [unrolled: 1-line block ×3, first 2 shown]
	v_add_f32_e32 v36, v39, v55
	v_fmac_f32_e32 v47, -0.5, v36
	v_mov_b32_e32 v50, v47
	v_fmac_f32_e32 v50, 0x3f737871, v35
	v_sub_f32_e32 v36, v43, v39
	v_sub_f32_e32 v38, v51, v55
	v_fmac_f32_e32 v50, 0xbf167918, v34
	v_add_f32_e32 v36, v36, v38
	v_fmac_f32_e32 v47, 0xbf737871, v35
	v_fmac_f32_e32 v50, 0x3e9e377a, v36
	;; [unrolled: 1-line block ×4, first 2 shown]
	v_mul_f32_e32 v51, 0x3f167918, v54
	v_mul_f32_e32 v55, 0x3f737871, v50
	;; [unrolled: 1-line block ×4, first 2 shown]
	v_add_f32_e32 v34, v56, v44
	v_fmac_f32_e32 v51, 0x3f4f1bbd, v37
	v_fmac_f32_e32 v55, 0x3e9e377a, v41
	v_fma_f32 v70, v47, s16, -v35
	v_mul_f32_e32 v35, 0x3f4f1bbd, v45
	v_fmac_f32_e32 v77, 0x3f4f1bbd, v54
	v_mul_f32_e32 v78, 0xbf737871, v41
	v_mul_f32_e32 v41, 0x3e9e377a, v47
	v_mul_f32_e32 v43, 0x3f4f1bbd, v52
	v_sub_f32_e32 v44, v56, v44
	v_mul_u32_u24_e32 v56, 0x28a, v58
	v_add_f32_e32 v36, v61, v51
	v_fma_f32 v71, v52, s5, -v35
	v_add_f32_e32 v35, v60, v53
	v_add_f32_e32 v37, v65, v77
	v_fmac_f32_e32 v78, 0x3e9e377a, v50
	v_fma_f32 v79, v46, s4, -v41
	v_fma_f32 v80, v45, s3, -v43
	v_add_lshl_u32 v87, v56, v59, 3
	v_add_f32_e32 v38, v64, v55
	v_add_f32_e32 v40, v63, v70
	;; [unrolled: 1-line block ×6, first 2 shown]
	v_sub_f32_e32 v45, v60, v53
	ds_write2_b64 v87, v[34:35], v[36:37] offset1:65
	ds_write2_b64 v87, v[38:39], v[40:41] offset0:130 offset1:195
	v_add_u32_e32 v34, 0x800, v87
	v_sub_f32_e32 v46, v61, v51
	v_sub_f32_e32 v52, v64, v55
	;; [unrolled: 1-line block ×8, first 2 shown]
	ds_write2_b64 v34, v[42:43], v[44:45] offset0:4 offset1:69
	ds_write2_b64 v34, v[46:47], v[52:53] offset0:134 offset1:199
	v_add_u32_e32 v34, 0x1000, v87
	v_add_u32_e32 v77, 0x1400, v83
	;; [unrolled: 1-line block ×3, first 2 shown]
	ds_write2_b64 v34, v[54:55], v[50:51] offset0:8 offset1:73
	s_waitcnt lgkmcnt(0)
	s_barrier
	ds_read2_b64 v[52:55], v83 offset1:195
	ds_read2_b64 v[58:61], v77 offset0:10 offset1:205
	ds_read2_b64 v[62:65], v78 offset0:20 offset1:215
	ds_read_b64 v[56:57], v83 offset:3120
	ds_read_b64 v[70:71], v83 offset:8320
	;; [unrolled: 1-line block ×3, first 2 shown]
	s_movk_i32 s16, 0x1000
	v_cmp_gt_u16_e64 s[2:3], s2, v82
	s_and_saveexec_b64 s[4:5], s[2:3]
	s_cbranch_execz .LBB0_9
; %bb.8:
	ds_read_b64 v[50:51], v83 offset:4680
	ds_read_b64 v[66:67], v83 offset:9880
	;; [unrolled: 1-line block ×3, first 2 shown]
.LBB0_9:
	s_or_b64 exec, exec, s[4:5]
	v_lshlrev_b32_e32 v40, 4, v82
	v_add_co_u32_e32 v79, vcc, 0x249, v82
	v_addc_co_u32_e64 v80, s[4:5], 0, 0, vcc
	v_mov_b32_e32 v88, s15
	v_add_co_u32_e32 v34, vcc, s14, v40
	v_addc_co_u32_e32 v35, vcc, 0, v88, vcc
	v_add_co_u32_e32 v34, vcc, 0x1000, v34
	v_lshlrev_b64 v[32:33], 4, v[32:33]
	v_addc_co_u32_e32 v35, vcc, 0, v35, vcc
	v_add_co_u32_e32 v32, vcc, s14, v32
	global_load_dwordx4 v[36:39], v[34:35], off offset:1000
	v_addc_co_u32_e32 v35, vcc, v88, v33, vcc
	v_add_u32_e32 v33, 0x1860, v40
	v_add_co_u32_e64 v33, s[4:5], s14, v33
	v_addc_co_u32_e64 v34, s[4:5], 0, v88, s[4:5]
	v_add_co_u32_e64 v33, s[4:5], s16, v33
	v_add_co_u32_e32 v32, vcc, s16, v32
	v_addc_co_u32_e64 v34, s[4:5], 0, v34, s[4:5]
	global_load_dwordx4 v[40:43], v[33:34], off offset:1000
	v_addc_co_u32_e32 v33, vcc, 0, v35, vcc
	s_movk_i32 s4, 0xffbf
	global_load_dwordx4 v[44:47], v[32:33], off offset:1000
	v_add_co_u32_e32 v32, vcc, s4, v82
	v_addc_co_u32_e64 v33, s[4:5], 0, -1, vcc
	v_cndmask_b32_e64 v33, v33, v80, s[2:3]
	v_cndmask_b32_e64 v32, v32, v79, s[2:3]
	v_lshlrev_b64 v[32:33], 4, v[32:33]
	v_add_co_u32_e32 v32, vcc, s14, v32
	v_addc_co_u32_e32 v33, vcc, v88, v33, vcc
	v_add_co_u32_e32 v32, vcc, s16, v32
	v_addc_co_u32_e32 v33, vcc, 0, v33, vcc
	global_load_dwordx4 v[32:35], v[32:33], off offset:1000
	s_waitcnt vmcnt(3) lgkmcnt(4)
	v_mul_f32_e32 v80, v58, v37
	s_waitcnt lgkmcnt(3)
	v_mul_f32_e32 v88, v63, v39
	v_mul_f32_e32 v79, v59, v37
	;; [unrolled: 1-line block ×3, first 2 shown]
	v_fmac_f32_e32 v80, v59, v36
	v_fma_f32 v59, v62, v38, -v88
	v_fma_f32 v58, v58, v36, -v79
	v_fmac_f32_e32 v89, v63, v38
	s_waitcnt vmcnt(2) lgkmcnt(1)
	v_mul_f32_e32 v91, v70, v41
	s_waitcnt lgkmcnt(0)
	v_mul_f32_e32 v92, v69, v43
	v_mul_f32_e32 v90, v71, v41
	v_mul_f32_e32 v93, v68, v43
	s_waitcnt vmcnt(1)
	v_mul_f32_e32 v62, v61, v45
	v_fmac_f32_e32 v91, v71, v40
	v_fma_f32 v71, v68, v42, -v92
	v_fma_f32 v68, v60, v44, -v62
	v_mul_f32_e32 v63, v65, v47
	v_mul_f32_e32 v88, v64, v47
	v_fmac_f32_e32 v93, v69, v42
	v_fma_f32 v69, v64, v46, -v63
	v_mul_f32_e32 v79, v60, v45
	v_fmac_f32_e32 v79, v61, v44
	v_fmac_f32_e32 v88, v65, v46
	v_add_f32_e32 v60, v52, v58
	v_fma_f32 v90, v70, v40, -v90
	v_add_f32_e32 v60, v60, v59
	s_waitcnt vmcnt(0)
	v_mul_f32_e32 v62, v49, v35
	v_mul_f32_e32 v94, v48, v35
	v_fma_f32 v96, v48, v34, -v62
	v_add_f32_e32 v48, v58, v59
	v_fma_f32 v64, -0.5, v48, v52
	v_sub_f32_e32 v48, v80, v89
	v_mov_b32_e32 v62, v64
	v_mul_f32_e32 v61, v67, v33
	v_fmac_f32_e32 v62, 0x3f5db3d7, v48
	v_fmac_f32_e32 v64, 0xbf5db3d7, v48
	v_add_f32_e32 v48, v53, v80
	v_fma_f32 v95, v66, v32, -v61
	v_add_f32_e32 v61, v48, v89
	v_add_f32_e32 v48, v80, v89
	v_fma_f32 v65, -0.5, v48, v53
	v_sub_f32_e32 v48, v58, v59
	v_mov_b32_e32 v63, v65
	v_fmac_f32_e32 v63, 0xbf5db3d7, v48
	v_fmac_f32_e32 v65, 0x3f5db3d7, v48
	v_add_f32_e32 v48, v54, v68
	v_mul_f32_e32 v92, v66, v33
	v_add_f32_e32 v66, v48, v69
	v_add_f32_e32 v48, v68, v69
	v_fma_f32 v54, -0.5, v48, v54
	v_sub_f32_e32 v48, v79, v88
	v_mov_b32_e32 v52, v54
	v_fmac_f32_e32 v52, 0x3f5db3d7, v48
	v_fmac_f32_e32 v54, 0xbf5db3d7, v48
	v_add_f32_e32 v48, v55, v79
	v_fmac_f32_e32 v92, v67, v32
	v_add_f32_e32 v67, v48, v88
	v_add_f32_e32 v48, v79, v88
	v_fmac_f32_e32 v55, -0.5, v48
	v_sub_f32_e32 v48, v68, v69
	v_mov_b32_e32 v53, v55
	v_fmac_f32_e32 v53, 0xbf5db3d7, v48
	v_fmac_f32_e32 v55, 0x3f5db3d7, v48
	v_add_f32_e32 v48, v56, v90
	v_add_f32_e32 v68, v48, v71
	;; [unrolled: 1-line block ×3, first 2 shown]
	v_fma_f32 v56, -0.5, v48, v56
	v_sub_f32_e32 v48, v91, v93
	v_mov_b32_e32 v70, v56
	v_fmac_f32_e32 v70, 0x3f5db3d7, v48
	v_fmac_f32_e32 v56, 0xbf5db3d7, v48
	v_add_f32_e32 v48, v57, v91
	v_add_f32_e32 v69, v48, v93
	;; [unrolled: 1-line block ×3, first 2 shown]
	v_fmac_f32_e32 v57, -0.5, v48
	v_sub_f32_e32 v48, v90, v71
	v_mov_b32_e32 v71, v57
	v_fmac_f32_e32 v71, 0xbf5db3d7, v48
	v_fmac_f32_e32 v57, 0x3f5db3d7, v48
	v_add_f32_e32 v48, v50, v95
	v_add_f32_e32 v58, v48, v96
	;; [unrolled: 1-line block ×3, first 2 shown]
	v_fmac_f32_e32 v94, v49, v34
	v_fmac_f32_e32 v50, -0.5, v48
	v_sub_f32_e32 v49, v92, v94
	v_mov_b32_e32 v48, v50
	v_fmac_f32_e32 v48, 0x3f5db3d7, v49
	v_fmac_f32_e32 v50, 0xbf5db3d7, v49
	v_add_f32_e32 v49, v51, v92
	v_add_f32_e32 v59, v49, v94
	;; [unrolled: 1-line block ×3, first 2 shown]
	v_fmac_f32_e32 v51, -0.5, v49
	v_sub_f32_e32 v79, v95, v96
	v_mov_b32_e32 v49, v51
	v_fmac_f32_e32 v49, 0xbf5db3d7, v79
	v_fmac_f32_e32 v51, 0x3f5db3d7, v79
	ds_write2_b64 v83, v[60:61], v[66:67] offset1:195
	ds_write2_b64 v77, v[62:63], v[52:53] offset0:10 offset1:205
	ds_write2_b64 v78, v[64:65], v[54:55] offset0:20 offset1:215
	ds_write_b64 v83, v[68:69] offset:3120
	ds_write_b64 v83, v[70:71] offset:8320
	;; [unrolled: 1-line block ×3, first 2 shown]
	s_and_saveexec_b64 s[4:5], s[2:3]
	s_cbranch_execz .LBB0_11
; %bb.10:
	ds_write_b64 v83, v[58:59] offset:4680
	ds_write_b64 v83, v[48:49] offset:9880
	;; [unrolled: 1-line block ×3, first 2 shown]
.LBB0_11:
	s_or_b64 exec, exec, s[4:5]
	s_waitcnt lgkmcnt(0)
	s_barrier
	s_and_saveexec_b64 s[4:5], s[0:1]
	s_cbranch_execz .LBB0_13
; %bb.12:
	v_add_co_u32_e32 v94, vcc, s12, v81
	v_mov_b32_e32 v77, s13
	v_addc_co_u32_e32 v95, vcc, 0, v77, vcc
	v_add_co_u32_e32 v88, vcc, 0x3cf0, v94
	v_addc_co_u32_e32 v89, vcc, 0, v95, vcc
	v_add_co_u32_e32 v79, vcc, 0x3000, v94
	v_addc_co_u32_e32 v80, vcc, 0, v95, vcc
	global_load_dwordx2 v[79:80], v[79:80], off offset:3312
	ds_read_b64 v[77:78], v83
	v_add_u32_e32 v96, 0x400, v81
	s_movk_i32 s14, 0x4000
	s_waitcnt vmcnt(0) lgkmcnt(0)
	v_mul_f32_e32 v90, v78, v80
	v_mul_f32_e32 v91, v77, v80
	v_fma_f32 v90, v77, v79, -v90
	v_fmac_f32_e32 v91, v78, v79
	ds_write_b64 v83, v[90:91]
	global_load_dwordx2 v[90:91], v[88:89], off offset:1200
	ds_read2_b64 v[77:80], v96 offset0:22 offset1:172
	s_waitcnt vmcnt(0) lgkmcnt(0)
	v_mul_f32_e32 v92, v78, v91
	v_mul_f32_e32 v93, v77, v91
	v_fma_f32 v92, v77, v90, -v92
	v_fmac_f32_e32 v93, v78, v90
	global_load_dwordx2 v[77:78], v[88:89], off offset:2400
	s_waitcnt vmcnt(0)
	v_mul_f32_e32 v90, v80, v78
	global_load_dwordx2 v[88:89], v[88:89], off offset:3600
	v_mul_f32_e32 v91, v79, v78
	v_fma_f32 v90, v79, v77, -v90
	v_fmac_f32_e32 v91, v80, v77
	ds_write2_b64 v96, v[92:93], v[90:91] offset0:22 offset1:172
	v_add_u32_e32 v92, 0xc00, v81
	ds_read2_b64 v[77:80], v92 offset0:66 offset1:216
	v_add_u32_e32 v96, 0x1600, v81
	s_waitcnt vmcnt(0) lgkmcnt(0)
	v_mul_f32_e32 v90, v78, v89
	v_fma_f32 v90, v77, v88, -v90
	v_mul_f32_e32 v91, v77, v89
	v_add_co_u32_e32 v77, vcc, s14, v94
	v_fmac_f32_e32 v91, v78, v88
	v_addc_co_u32_e32 v78, vcc, 0, v95, vcc
	global_load_dwordx2 v[77:78], v[77:78], off offset:4016
	s_movk_i32 s14, 0x5000
	s_waitcnt vmcnt(0)
	v_mul_f32_e32 v88, v80, v78
	v_mul_f32_e32 v89, v79, v78
	v_fma_f32 v88, v79, v77, -v88
	v_fmac_f32_e32 v89, v80, v77
	ds_write2_b64 v92, v[90:91], v[88:89] offset0:66 offset1:216
	v_add_co_u32_e32 v88, vcc, s14, v94
	v_addc_co_u32_e32 v89, vcc, 0, v95, vcc
	global_load_dwordx2 v[90:91], v[88:89], off offset:1120
	ds_read2_b64 v[77:80], v96 offset0:46 offset1:196
	s_movk_i32 s14, 0x6000
	s_waitcnt vmcnt(0) lgkmcnt(0)
	v_mul_f32_e32 v92, v78, v91
	v_mul_f32_e32 v93, v77, v91
	v_fma_f32 v92, v77, v90, -v92
	v_fmac_f32_e32 v93, v78, v90
	global_load_dwordx2 v[77:78], v[88:89], off offset:2320
	s_waitcnt vmcnt(0)
	v_mul_f32_e32 v90, v80, v78
	global_load_dwordx2 v[88:89], v[88:89], off offset:3520
	v_mul_f32_e32 v91, v79, v78
	v_fma_f32 v90, v79, v77, -v90
	v_fmac_f32_e32 v91, v80, v77
	ds_write2_b64 v96, v[92:93], v[90:91] offset0:46 offset1:196
	v_add_u32_e32 v96, 0x2000, v81
	ds_read2_b64 v[77:80], v96 offset0:26 offset1:176
	s_waitcnt vmcnt(0) lgkmcnt(0)
	v_mul_f32_e32 v90, v78, v89
	v_mul_f32_e32 v91, v77, v89
	v_fma_f32 v90, v77, v88, -v90
	v_fmac_f32_e32 v91, v78, v88
	v_add_co_u32_e32 v88, vcc, s14, v94
	v_addc_co_u32_e32 v89, vcc, 0, v95, vcc
	global_load_dwordx2 v[77:78], v[88:89], off offset:624
	s_movk_i32 s14, 0x7000
	s_waitcnt vmcnt(0)
	v_mul_f32_e32 v92, v80, v78
	v_mul_f32_e32 v93, v79, v78
	v_fma_f32 v92, v79, v77, -v92
	v_fmac_f32_e32 v93, v80, v77
	ds_write2_b64 v96, v[90:91], v[92:93] offset0:26 offset1:176
	global_load_dwordx2 v[90:91], v[88:89], off offset:1824
	v_add_u32_e32 v96, 0x2800, v81
	ds_read2_b64 v[77:80], v96 offset0:70 offset1:220
	s_waitcnt vmcnt(0) lgkmcnt(0)
	v_mul_f32_e32 v92, v78, v91
	v_mul_f32_e32 v93, v77, v91
	v_fma_f32 v92, v77, v90, -v92
	v_fmac_f32_e32 v93, v78, v90
	global_load_dwordx2 v[77:78], v[88:89], off offset:3024
	s_waitcnt vmcnt(0)
	v_mul_f32_e32 v88, v80, v78
	v_mul_f32_e32 v89, v79, v78
	v_fma_f32 v88, v79, v77, -v88
	v_fmac_f32_e32 v89, v80, v77
	ds_write2_b64 v96, v[92:93], v[88:89] offset0:70 offset1:220
	v_add_co_u32_e32 v88, vcc, s14, v94
	v_addc_co_u32_e32 v89, vcc, 0, v95, vcc
	global_load_dwordx2 v[90:91], v[88:89], off offset:128
	v_add_u32_e32 v96, 0x3200, v81
	ds_read2_b64 v[77:80], v96 offset0:50 offset1:200
	s_waitcnt vmcnt(0) lgkmcnt(0)
	v_mul_f32_e32 v92, v78, v91
	v_mul_f32_e32 v93, v77, v91
	v_fma_f32 v92, v77, v90, -v92
	v_fmac_f32_e32 v93, v78, v90
	global_load_dwordx2 v[77:78], v[88:89], off offset:1328
	s_waitcnt vmcnt(0)
	v_mul_f32_e32 v88, v80, v78
	v_mul_f32_e32 v89, v79, v78
	v_fma_f32 v88, v79, v77, -v88
	v_fmac_f32_e32 v89, v80, v77
	ds_write2_b64 v96, v[92:93], v[88:89] offset0:50 offset1:200
.LBB0_13:
	s_or_b64 exec, exec, s[4:5]
	s_waitcnt lgkmcnt(0)
	s_barrier
	s_and_saveexec_b64 s[4:5], s[0:1]
	s_cbranch_execz .LBB0_15
; %bb.14:
	v_add_u32_e32 v48, 0x800, v83
	ds_read2_b64 v[64:67], v48 offset0:44 offset1:194
	v_add_u32_e32 v48, 0x1000, v83
	ds_read2_b64 v[52:55], v48 offset0:88 offset1:238
	;; [unrolled: 2-line block ×4, first 2 shown]
	v_add_u32_e32 v48, 0x2c00, v83
	ds_read2_b64 v[60:63], v83 offset1:150
	ds_read2_b64 v[48:51], v48 offset0:92 offset1:242
	ds_read_b64 v[73:74], v83 offset:14400
.LBB0_15:
	s_or_b64 exec, exec, s[4:5]
	s_waitcnt lgkmcnt(0)
	v_sub_f32_e32 v100, v63, v74
	v_add_f32_e32 v88, v73, v62
	v_add_f32_e32 v102, v74, v63
	s_mov_b32 s14, 0x3f116cb1
	v_mul_f32_e32 v104, 0xbf52af12, v100
	v_sub_f32_e32 v101, v65, v51
	v_mul_f32_e32 v107, 0x3f116cb1, v102
	v_fma_f32 v77, v88, s14, -v104
	v_add_f32_e32 v89, v50, v64
	v_add_f32_e32 v105, v51, v65
	s_mov_b32 s16, 0xbeb58ec6
	v_mul_f32_e32 v109, 0xbf6f5d39, v101
	v_sub_f32_e32 v90, v62, v73
	v_add_f32_e32 v77, v60, v77
	v_mov_b32_e32 v78, v107
	v_mul_f32_e32 v112, 0xbeb58ec6, v105
	v_fma_f32 v92, v89, s16, -v109
	v_fmac_f32_e32 v78, 0xbf52af12, v90
	s_mov_b32 s15, 0x3df6dbef
	v_mul_f32_e32 v113, 0xbf7e222b, v100
	v_sub_f32_e32 v91, v64, v50
	v_add_f32_e32 v77, v92, v77
	v_mov_b32_e32 v92, v112
	v_add_f32_e32 v78, v61, v78
	v_mul_f32_e32 v116, 0x3df6dbef, v102
	v_fma_f32 v79, v88, s15, -v113
	v_fmac_f32_e32 v92, 0xbf6f5d39, v91
	s_mov_b32 s17, 0xbf788fa5
	v_mul_f32_e32 v119, 0xbe750f2a, v101
	v_add_f32_e32 v79, v60, v79
	v_mov_b32_e32 v80, v116
	v_add_f32_e32 v78, v92, v78
	v_mul_f32_e32 v122, 0xbf788fa5, v105
	v_fma_f32 v92, v89, s17, -v119
	v_fmac_f32_e32 v80, 0xbf7e222b, v90
	v_add_f32_e32 v79, v92, v79
	v_mov_b32_e32 v92, v122
	v_add_f32_e32 v80, v61, v80
	v_fmac_f32_e32 v92, 0xbe750f2a, v91
	v_sub_f32_e32 v103, v67, v49
	v_add_f32_e32 v80, v92, v80
	v_add_f32_e32 v92, v48, v66
	;; [unrolled: 1-line block ×3, first 2 shown]
	v_mul_f32_e32 v114, 0xbe750f2a, v103
	v_mul_f32_e32 v118, 0xbf788fa5, v108
	v_fma_f32 v93, v92, s17, -v114
	v_sub_f32_e32 v94, v66, v48
	v_add_f32_e32 v77, v93, v77
	v_mov_b32_e32 v93, v118
	v_fmac_f32_e32 v93, 0xbe750f2a, v94
	v_mul_f32_e32 v124, 0x3f6f5d39, v103
	v_add_f32_e32 v78, v93, v78
	v_mul_f32_e32 v126, 0xbeb58ec6, v108
	v_fma_f32 v93, v92, s16, -v124
	v_add_f32_e32 v79, v93, v79
	v_mov_b32_e32 v93, v126
	v_fmac_f32_e32 v93, 0x3f6f5d39, v94
	v_sub_f32_e32 v106, v53, v59
	v_add_f32_e32 v80, v93, v80
	v_add_f32_e32 v93, v58, v52
	;; [unrolled: 1-line block ×3, first 2 shown]
	s_mov_b32 s18, 0xbf3f9e67
	v_mul_f32_e32 v120, 0x3f29c268, v106
	v_mul_f32_e32 v123, 0xbf3f9e67, v111
	v_fma_f32 v96, v93, s18, -v120
	v_sub_f32_e32 v95, v52, v58
	v_add_f32_e32 v77, v96, v77
	v_mov_b32_e32 v96, v123
	v_fmac_f32_e32 v96, 0x3f29c268, v95
	s_mov_b32 s19, 0x3f62ad3f
	v_mul_f32_e32 v128, 0x3eedf032, v106
	v_add_f32_e32 v78, v96, v78
	v_mul_f32_e32 v130, 0x3f62ad3f, v111
	v_fma_f32 v96, v93, s19, -v128
	v_add_f32_e32 v79, v96, v79
	v_mov_b32_e32 v96, v130
	v_fmac_f32_e32 v96, 0x3eedf032, v95
	v_sub_f32_e32 v110, v55, v57
	v_add_f32_e32 v80, v96, v80
	v_add_f32_e32 v96, v56, v54
	;; [unrolled: 1-line block ×3, first 2 shown]
	v_mul_f32_e32 v125, 0x3f7e222b, v110
	v_mul_f32_e32 v127, 0x3df6dbef, v117
	v_fma_f32 v98, v96, s15, -v125
	v_sub_f32_e32 v97, v54, v56
	v_add_f32_e32 v77, v98, v77
	v_mov_b32_e32 v98, v127
	v_fmac_f32_e32 v98, 0x3f7e222b, v97
	v_mul_f32_e32 v132, 0xbf52af12, v110
	v_add_f32_e32 v78, v98, v78
	v_mul_f32_e32 v133, 0x3f116cb1, v117
	v_fma_f32 v98, v96, s14, -v132
	v_add_f32_e32 v79, v98, v79
	v_mov_b32_e32 v98, v133
	v_fmac_f32_e32 v98, 0xbf52af12, v97
	v_sub_f32_e32 v115, v69, v71
	v_add_f32_e32 v80, v98, v80
	v_add_f32_e32 v98, v70, v68
	;; [unrolled: 1-line block ×3, first 2 shown]
	v_mul_f32_e32 v129, 0x3eedf032, v115
	v_mul_f32_e32 v131, 0x3f62ad3f, v121
	v_fma_f32 v134, v98, s19, -v129
	v_sub_f32_e32 v99, v68, v70
	v_add_f32_e32 v77, v134, v77
	v_mov_b32_e32 v134, v131
	v_fmac_f32_e32 v134, 0x3eedf032, v99
	v_add_f32_e32 v78, v134, v78
	v_mul_f32_e32 v134, 0xbf29c268, v115
	v_mul_f32_e32 v135, 0xbf3f9e67, v121
	v_fma_f32 v136, v98, s18, -v134
	v_add_f32_e32 v79, v136, v79
	v_mov_b32_e32 v136, v135
	v_fmac_f32_e32 v136, 0xbf29c268, v99
	v_add_f32_e32 v80, v136, v80
	s_barrier
	s_and_saveexec_b64 s[4:5], s[0:1]
	s_cbranch_execz .LBB0_17
; %bb.16:
	v_mul_f32_e32 v166, 0xbf788fa5, v102
	v_mov_b32_e32 v136, v166
	v_mul_f32_e32 v167, 0x3f62ad3f, v105
	v_fmac_f32_e32 v136, 0x3e750f2a, v90
	v_mov_b32_e32 v137, v167
	v_add_f32_e32 v136, v61, v136
	v_fmac_f32_e32 v137, 0xbeedf032, v91
	v_mul_f32_e32 v168, 0xbf3f9e67, v108
	v_add_f32_e32 v136, v137, v136
	v_mov_b32_e32 v137, v168
	v_fmac_f32_e32 v137, 0x3f29c268, v94
	v_mul_f32_e32 v169, 0x3f116cb1, v111
	v_add_f32_e32 v136, v137, v136
	v_mov_b32_e32 v137, v169
	;; [unrolled: 4-line block ×5, first 2 shown]
	v_mul_f32_e32 v173, 0x3eedf032, v101
	v_fmac_f32_e32 v136, 0xbf788fa5, v88
	v_mov_b32_e32 v138, v173
	v_add_f32_e32 v136, v60, v136
	v_fmac_f32_e32 v138, 0x3f62ad3f, v89
	v_mul_f32_e32 v174, 0xbf29c268, v103
	v_add_f32_e32 v136, v138, v136
	v_mov_b32_e32 v138, v174
	v_fmac_f32_e32 v138, 0xbf3f9e67, v92
	v_mul_f32_e32 v175, 0x3f52af12, v106
	v_add_f32_e32 v136, v138, v136
	v_mov_b32_e32 v138, v175
	v_add_f32_e32 v63, v63, v61
	v_fmac_f32_e32 v138, 0x3f116cb1, v93
	v_mul_f32_e32 v176, 0xbf6f5d39, v110
	v_add_f32_e32 v63, v65, v63
	v_add_f32_e32 v136, v138, v136
	v_mov_b32_e32 v138, v176
	v_add_f32_e32 v63, v67, v63
	v_fmac_f32_e32 v138, 0xbeb58ec6, v96
	v_mul_f32_e32 v177, 0x3f7e222b, v115
	v_add_f32_e32 v53, v53, v63
	v_add_f32_e32 v136, v138, v136
	v_mov_b32_e32 v138, v177
	v_add_f32_e32 v53, v55, v53
	v_fmac_f32_e32 v138, 0x3df6dbef, v98
	v_mul_f32_e32 v178, 0xbf3f9e67, v102
	v_add_f32_e32 v53, v69, v53
	v_add_f32_e32 v136, v138, v136
	v_mov_b32_e32 v138, v178
	v_mul_f32_e32 v179, 0x3df6dbef, v105
	v_add_f32_e32 v53, v71, v53
	v_fmac_f32_e32 v138, 0x3f29c268, v90
	v_mov_b32_e32 v139, v179
	v_add_f32_e32 v53, v57, v53
	v_add_f32_e32 v138, v61, v138
	v_fmac_f32_e32 v139, 0xbf7e222b, v91
	v_mul_f32_e32 v180, 0x3f116cb1, v108
	v_add_f32_e32 v53, v59, v53
	v_add_f32_e32 v138, v139, v138
	v_mov_b32_e32 v139, v180
	v_add_f32_e32 v49, v49, v53
	v_fmac_f32_e32 v139, 0x3f52af12, v94
	v_mul_f32_e32 v181, 0xbf788fa5, v111
	v_add_f32_e32 v49, v51, v49
	v_add_f32_e32 v51, v62, v60
	;; [unrolled: 1-line block ×3, first 2 shown]
	v_mov_b32_e32 v139, v181
	v_add_f32_e32 v51, v64, v51
	v_fmac_f32_e32 v139, 0xbe750f2a, v95
	v_mul_f32_e32 v182, 0x3f62ad3f, v117
	v_add_f32_e32 v51, v66, v51
	v_add_f32_e32 v138, v139, v138
	v_mov_b32_e32 v139, v182
	v_add_f32_e32 v51, v52, v51
	v_fmac_f32_e32 v139, 0xbeedf032, v97
	v_mul_f32_e32 v183, 0xbeb58ec6, v121
	v_add_f32_e32 v51, v54, v51
	v_add_f32_e32 v138, v139, v138
	;; [unrolled: 6-line block ×3, first 2 shown]
	v_mov_b32_e32 v138, v184
	v_mul_f32_e32 v185, 0x3f7e222b, v101
	v_add_f32_e32 v51, v56, v51
	v_fmac_f32_e32 v138, 0xbf3f9e67, v88
	v_mov_b32_e32 v140, v185
	v_add_f32_e32 v51, v58, v51
	v_mul_f32_e32 v145, 0xbf7e222b, v90
	v_add_f32_e32 v138, v60, v138
	v_fmac_f32_e32 v140, 0x3df6dbef, v89
	v_mul_f32_e32 v186, 0xbf52af12, v103
	v_add_f32_e32 v48, v48, v51
	v_fmac_f32_e32 v166, 0xbe750f2a, v90
	v_mul_f32_e32 v149, 0xbe750f2a, v91
	v_add_f32_e32 v138, v140, v138
	v_mov_b32_e32 v140, v186
	v_sub_f32_e32 v116, v116, v145
	v_add_f32_e32 v48, v50, v48
	v_add_f32_e32 v50, v61, v166
	v_fmac_f32_e32 v167, 0x3eedf032, v91
	v_mul_f32_e32 v153, 0x3f6f5d39, v94
	v_fmac_f32_e32 v140, 0x3f116cb1, v92
	v_mul_f32_e32 v187, 0x3e750f2a, v106
	v_add_f32_e32 v116, v61, v116
	v_sub_f32_e32 v122, v122, v149
	v_add_f32_e32 v50, v167, v50
	v_fmac_f32_e32 v168, 0xbf29c268, v94
	v_mul_f32_e32 v157, 0x3eedf032, v95
	v_add_f32_e32 v138, v140, v138
	v_mov_b32_e32 v140, v187
	v_add_f32_e32 v116, v122, v116
	v_sub_f32_e32 v122, v126, v153
	v_add_f32_e32 v50, v168, v50
	v_fmac_f32_e32 v169, 0x3f52af12, v95
	v_mul_f32_e32 v161, 0xbf52af12, v97
	v_fmac_f32_e32 v140, 0xbf788fa5, v93
	v_mul_f32_e32 v188, 0x3eedf032, v110
	v_add_f32_e32 v116, v122, v116
	v_sub_f32_e32 v122, v130, v157
	v_add_f32_e32 v50, v169, v50
	v_fmac_f32_e32 v170, 0xbf6f5d39, v97
	v_mul_f32_e32 v143, 0xbf52af12, v90
	v_mul_f32_e32 v144, 0x3df6dbef, v88
	;; [unrolled: 1-line block ×3, first 2 shown]
	v_add_f32_e32 v138, v140, v138
	v_mov_b32_e32 v140, v188
	v_add_f32_e32 v116, v122, v116
	v_sub_f32_e32 v122, v133, v161
	v_add_f32_e32 v50, v170, v50
	v_fmac_f32_e32 v171, 0x3f7e222b, v99
	v_mul_f32_e32 v147, 0xbf6f5d39, v91
	v_mul_f32_e32 v148, 0xbf788fa5, v89
	v_fmac_f32_e32 v140, 0x3f62ad3f, v96
	v_mul_f32_e32 v189, 0xbf6f5d39, v115
	v_add_f32_e32 v116, v122, v116
	v_sub_f32_e32 v122, v135, v165
	v_add_f32_e32 v113, v144, v113
	v_sub_f32_e32 v107, v107, v143
	v_add_f32_e32 v51, v171, v50
	v_fma_f32 v50, v88, s17, -v172
	v_mul_f32_e32 v151, 0xbe750f2a, v94
	v_mul_f32_e32 v152, 0xbeb58ec6, v92
	v_add_f32_e32 v138, v140, v138
	v_mov_b32_e32 v140, v189
	v_add_f32_e32 v133, v122, v116
	v_add_f32_e32 v113, v60, v113
	;; [unrolled: 1-line block ×4, first 2 shown]
	v_sub_f32_e32 v112, v112, v147
	v_add_f32_e32 v50, v60, v50
	v_fma_f32 v52, v89, s19, -v173
	v_mul_f32_e32 v155, 0x3f29c268, v95
	v_mul_f32_e32 v156, 0x3f62ad3f, v93
	v_fmac_f32_e32 v140, 0xbeb58ec6, v98
	v_mul_f32_e32 v190, 0xbeb58ec6, v102
	v_add_f32_e32 v113, v116, v113
	v_add_f32_e32 v116, v152, v124
	;; [unrolled: 1-line block ×3, first 2 shown]
	v_sub_f32_e32 v112, v118, v151
	v_add_f32_e32 v50, v52, v50
	v_fma_f32 v52, v92, s18, -v174
	v_mul_f32_e32 v159, 0x3f7e222b, v97
	v_mul_f32_e32 v160, 0x3f116cb1, v96
	v_add_f32_e32 v138, v140, v138
	v_mov_b32_e32 v140, v190
	v_mul_f32_e32 v191, 0xbf3f9e67, v105
	v_add_f32_e32 v113, v116, v113
	v_add_f32_e32 v116, v156, v128
	;; [unrolled: 1-line block ×3, first 2 shown]
	v_sub_f32_e32 v112, v123, v155
	v_add_f32_e32 v50, v52, v50
	v_fma_f32 v52, v93, s14, -v175
	v_mul_f32_e32 v142, 0x3f116cb1, v88
	v_mul_f32_e32 v163, 0x3eedf032, v99
	;; [unrolled: 1-line block ×3, first 2 shown]
	v_fmac_f32_e32 v140, 0x3f6f5d39, v90
	v_mov_b32_e32 v141, v191
	v_add_f32_e32 v113, v116, v113
	v_add_f32_e32 v116, v160, v132
	;; [unrolled: 1-line block ×3, first 2 shown]
	v_sub_f32_e32 v112, v127, v159
	v_add_f32_e32 v50, v52, v50
	v_fma_f32 v52, v96, s16, -v176
	v_mul_f32_e32 v146, 0xbeb58ec6, v89
	v_add_f32_e32 v140, v61, v140
	v_fmac_f32_e32 v141, 0xbf29c268, v91
	v_mul_f32_e32 v192, 0x3f62ad3f, v108
	v_add_f32_e32 v113, v116, v113
	v_add_f32_e32 v116, v164, v134
	;; [unrolled: 1-line block ×3, first 2 shown]
	v_sub_f32_e32 v112, v131, v163
	v_add_f32_e32 v104, v142, v104
	v_add_f32_e32 v50, v52, v50
	v_fma_f32 v52, v98, s15, -v177
	v_fmac_f32_e32 v178, 0xbf29c268, v90
	v_mul_f32_e32 v150, 0xbf788fa5, v92
	v_add_f32_e32 v140, v141, v140
	v_mov_b32_e32 v141, v192
	v_add_f32_e32 v132, v116, v113
	v_add_f32_e32 v113, v112, v107
	v_add_f32_e32 v104, v60, v104
	v_add_f32_e32 v107, v146, v109
	v_add_f32_e32 v50, v52, v50
	v_add_f32_e32 v52, v61, v178
	v_fmac_f32_e32 v179, 0x3f7e222b, v91
	v_mul_f32_e32 v154, 0xbf3f9e67, v93
	v_fmac_f32_e32 v141, 0xbeedf032, v94
	v_mul_f32_e32 v193, 0x3df6dbef, v111
	v_add_f32_e32 v104, v107, v104
	v_add_f32_e32 v107, v150, v114
	;; [unrolled: 1-line block ×3, first 2 shown]
	v_fmac_f32_e32 v180, 0xbf52af12, v94
	v_mul_f32_e32 v158, 0x3df6dbef, v96
	v_add_f32_e32 v140, v141, v140
	v_mov_b32_e32 v141, v193
	v_add_f32_e32 v104, v107, v104
	v_add_f32_e32 v107, v154, v120
	;; [unrolled: 1-line block ×3, first 2 shown]
	v_fmac_f32_e32 v181, 0x3e750f2a, v95
	v_mul_f32_e32 v162, 0x3f62ad3f, v98
	v_fmac_f32_e32 v141, 0x3f7e222b, v95
	v_mul_f32_e32 v194, 0xbf788fa5, v117
	v_add_f32_e32 v104, v107, v104
	v_add_f32_e32 v107, v158, v125
	;; [unrolled: 1-line block ×3, first 2 shown]
	v_fmac_f32_e32 v182, 0x3eedf032, v97
	v_add_f32_e32 v140, v141, v140
	v_mov_b32_e32 v141, v194
	v_add_f32_e32 v104, v107, v104
	v_add_f32_e32 v107, v162, v129
	;; [unrolled: 1-line block ×3, first 2 shown]
	v_fmac_f32_e32 v183, 0xbf6f5d39, v99
	v_fmac_f32_e32 v141, 0xbe750f2a, v97
	v_mul_f32_e32 v195, 0x3f116cb1, v121
	v_add_f32_e32 v112, v107, v104
	v_mul_f32_e32 v104, 0x3f62ad3f, v102
	v_add_f32_e32 v53, v183, v52
	v_fma_f32 v52, v88, s18, -v184
	v_add_f32_e32 v140, v141, v140
	v_mov_b32_e32 v141, v195
	v_mov_b32_e32 v102, v104
	v_mul_f32_e32 v105, 0x3f116cb1, v105
	v_add_f32_e32 v52, v60, v52
	v_fma_f32 v54, v89, s15, -v185
	v_fmac_f32_e32 v141, 0xbf52af12, v99
	v_mul_f32_e32 v196, 0xbf6f5d39, v100
	v_fmac_f32_e32 v102, 0x3eedf032, v90
	v_mov_b32_e32 v107, v105
	v_add_f32_e32 v52, v54, v52
	v_fma_f32 v54, v92, s14, -v186
	v_add_f32_e32 v141, v141, v140
	v_mov_b32_e32 v140, v196
	v_mul_f32_e32 v197, 0x3f29c268, v101
	v_add_f32_e32 v102, v61, v102
	v_fmac_f32_e32 v107, 0x3f52af12, v91
	v_add_f32_e32 v52, v54, v52
	v_fma_f32 v54, v93, s17, -v187
	v_fmac_f32_e32 v140, 0xbeb58ec6, v88
	v_mov_b32_e32 v198, v197
	v_add_f32_e32 v102, v107, v102
	v_mul_f32_e32 v107, 0x3df6dbef, v108
	v_add_f32_e32 v52, v54, v52
	v_fma_f32 v54, v96, s19, -v188
	v_add_f32_e32 v140, v60, v140
	v_fmac_f32_e32 v198, 0xbf3f9e67, v89
	v_mov_b32_e32 v108, v107
	v_add_f32_e32 v52, v54, v52
	v_fma_f32 v54, v98, s16, -v189
	v_fmac_f32_e32 v190, 0xbf6f5d39, v90
	v_add_f32_e32 v140, v198, v140
	v_mul_f32_e32 v198, 0x3eedf032, v103
	v_fmac_f32_e32 v108, 0x3f7e222b, v94
	v_add_f32_e32 v52, v54, v52
	v_add_f32_e32 v54, v61, v190
	v_fmac_f32_e32 v191, 0x3f29c268, v91
	v_mov_b32_e32 v199, v198
	v_add_f32_e32 v102, v108, v102
	v_mul_f32_e32 v108, 0xbeb58ec6, v111
	v_add_f32_e32 v54, v191, v54
	v_fmac_f32_e32 v192, 0x3eedf032, v94
	v_fmac_f32_e32 v199, 0x3f62ad3f, v92
	v_mov_b32_e32 v109, v108
	v_add_f32_e32 v54, v192, v54
	v_fmac_f32_e32 v193, 0xbf7e222b, v95
	v_add_f32_e32 v140, v199, v140
	v_mul_f32_e32 v199, 0xbf7e222b, v106
	v_fmac_f32_e32 v109, 0x3f6f5d39, v95
	v_add_f32_e32 v54, v193, v54
	v_fmac_f32_e32 v194, 0x3e750f2a, v97
	v_mov_b32_e32 v200, v199
	v_add_f32_e32 v102, v109, v102
	v_mul_f32_e32 v109, 0xbf3f9e67, v117
	v_add_f32_e32 v54, v194, v54
	v_fmac_f32_e32 v195, 0x3f52af12, v99
	v_fmac_f32_e32 v200, 0x3df6dbef, v93
	v_mov_b32_e32 v111, v109
	v_add_f32_e32 v55, v195, v54
	v_fma_f32 v54, v88, s16, -v196
	v_add_f32_e32 v140, v200, v140
	v_mul_f32_e32 v200, 0x3e750f2a, v110
	v_fmac_f32_e32 v111, 0x3f29c268, v97
	v_add_f32_e32 v54, v60, v54
	v_fma_f32 v56, v89, s18, -v197
	v_mov_b32_e32 v201, v200
	v_add_f32_e32 v102, v111, v102
	v_mul_f32_e32 v111, 0xbf788fa5, v121
	v_add_f32_e32 v54, v56, v54
	v_fma_f32 v56, v92, s19, -v198
	v_fmac_f32_e32 v201, 0xbf788fa5, v96
	v_mov_b32_e32 v114, v111
	v_add_f32_e32 v54, v56, v54
	v_fma_f32 v56, v93, s15, -v199
	v_add_f32_e32 v140, v201, v140
	v_mul_f32_e32 v201, 0x3f52af12, v115
	v_fmac_f32_e32 v114, 0x3e750f2a, v99
	v_mul_f32_e32 v100, 0xbeedf032, v100
	v_add_f32_e32 v54, v56, v54
	v_fma_f32 v56, v96, s17, -v200
	v_add_f32_e32 v102, v114, v102
	v_mov_b32_e32 v114, v100
	v_mul_f32_e32 v116, 0xbf52af12, v101
	v_add_f32_e32 v54, v56, v54
	v_fma_f32 v56, v98, s14, -v201
	v_fmac_f32_e32 v104, 0xbeedf032, v90
	v_fmac_f32_e32 v114, 0x3f62ad3f, v88
	v_mov_b32_e32 v101, v116
	v_add_f32_e32 v54, v56, v54
	v_add_f32_e32 v56, v61, v104
	v_fmac_f32_e32 v105, 0xbf52af12, v91
	v_add_f32_e32 v114, v60, v114
	v_fmac_f32_e32 v101, 0x3f116cb1, v89
	v_mul_f32_e32 v103, 0xbf7e222b, v103
	v_add_f32_e32 v56, v105, v56
	v_fmac_f32_e32 v107, 0xbf7e222b, v94
	v_add_f32_e32 v101, v101, v114
	v_mov_b32_e32 v114, v103
	v_add_f32_e32 v56, v107, v56
	v_fmac_f32_e32 v108, 0xbf6f5d39, v95
	v_fmac_f32_e32 v114, 0x3df6dbef, v92
	v_mul_f32_e32 v106, 0xbf6f5d39, v106
	v_add_f32_e32 v56, v108, v56
	v_fmac_f32_e32 v109, 0xbf29c268, v97
	v_add_f32_e32 v101, v114, v101
	v_mov_b32_e32 v114, v106
	v_add_f32_e32 v56, v109, v56
	v_fmac_f32_e32 v111, 0xbe750f2a, v99
	v_fmac_f32_e32 v114, 0xbeb58ec6, v93
	v_mul_f32_e32 v110, 0xbf29c268, v110
	v_add_f32_e32 v57, v111, v56
	v_fma_f32 v56, v88, s19, -v100
	v_add_f32_e32 v101, v114, v101
	v_mov_b32_e32 v114, v110
	v_add_f32_e32 v56, v60, v56
	v_fma_f32 v58, v89, s14, -v116
	v_fmac_f32_e32 v114, 0xbf3f9e67, v96
	v_add_f32_e32 v56, v58, v56
	v_fma_f32 v58, v92, s15, -v103
	v_add_f32_e32 v101, v114, v101
	v_mul_f32_e32 v114, 0xbe750f2a, v115
	v_add_f32_e32 v56, v58, v56
	v_fma_f32 v58, v93, s16, -v106
	v_mov_b32_e32 v115, v114
	v_add_f32_e32 v56, v58, v56
	v_fma_f32 v58, v96, s18, -v110
	v_mov_b32_e32 v202, v201
	v_fmac_f32_e32 v115, 0xbf788fa5, v98
	v_add_f32_e32 v56, v58, v56
	v_fma_f32 v58, v98, s17, -v114
	v_fmac_f32_e32 v202, 0x3f116cb1, v98
	v_add_f32_e32 v101, v115, v101
	v_add_f32_e32 v49, v74, v49
	;; [unrolled: 1-line block ×4, first 2 shown]
	v_lshlrev_b32_e32 v58, 3, v84
	v_add_f32_e32 v140, v202, v140
	ds_write2_b64 v58, v[48:49], v[101:102] offset1:1
	ds_write2_b64 v58, v[112:113], v[132:133] offset0:2 offset1:3
	ds_write2_b64 v58, v[140:141], v[138:139] offset0:4 offset1:5
	;; [unrolled: 1-line block ×5, first 2 shown]
	ds_write_b64 v58, v[56:57] offset:96
.LBB0_17:
	s_or_b64 exec, exec, s[4:5]
	v_add_u32_e32 v68, 0xc00, v83
	s_waitcnt lgkmcnt(0)
	s_barrier
	ds_read2_b64 v[52:55], v68 offset0:6 offset1:201
	v_add_u32_e32 v69, 0x1800, v83
	v_add_u32_e32 v70, 0x2400, v83
	ds_read2_b64 v[56:59], v69 offset0:12 offset1:207
	ds_read2_b64 v[60:63], v70 offset0:18 offset1:213
	v_add_u32_e32 v71, 0x3000, v83
	ds_read2_b64 v[64:67], v71 offset0:24 offset1:219
	ds_read2_b64 v[48:51], v83 offset1:195
	s_waitcnt lgkmcnt(4)
	v_mul_f32_e32 v73, v5, v53
	v_mul_f32_e32 v5, v5, v52
	v_fmac_f32_e32 v73, v4, v52
	v_fma_f32 v52, v4, v53, -v5
	s_waitcnt lgkmcnt(3)
	v_mul_f32_e32 v53, v7, v57
	v_mul_f32_e32 v4, v7, v56
	s_waitcnt lgkmcnt(2)
	v_mul_f32_e32 v7, v1, v61
	v_mul_f32_e32 v1, v1, v60
	v_fmac_f32_e32 v53, v6, v56
	v_fma_f32 v56, v6, v57, -v4
	v_fmac_f32_e32 v7, v0, v60
	v_fma_f32 v57, v0, v61, -v1
	s_waitcnt lgkmcnt(1)
	v_mul_f32_e32 v0, v3, v64
	v_mul_f32_e32 v5, v3, v65
	v_fma_f32 v60, v2, v65, -v0
	v_mul_f32_e32 v61, v13, v55
	v_mul_f32_e32 v0, v13, v54
	v_add_f32_e32 v1, v53, v7
	v_fmac_f32_e32 v5, v2, v64
	v_fmac_f32_e32 v61, v12, v54
	v_fma_f32 v54, v12, v55, -v0
	v_mul_f32_e32 v55, v15, v59
	v_mul_f32_e32 v0, v15, v58
	s_waitcnt lgkmcnt(0)
	v_fma_f32 v2, -0.5, v1, v48
	v_fmac_f32_e32 v55, v14, v58
	v_fma_f32 v58, v14, v59, -v0
	v_mul_f32_e32 v59, v9, v63
	v_mul_f32_e32 v0, v9, v62
	v_sub_f32_e32 v1, v52, v60
	v_mov_b32_e32 v4, v2
	v_fmac_f32_e32 v59, v8, v62
	v_fma_f32 v62, v8, v63, -v0
	v_fmac_f32_e32 v4, 0xbf737871, v1
	v_sub_f32_e32 v3, v56, v57
	v_sub_f32_e32 v6, v73, v53
	;; [unrolled: 1-line block ×3, first 2 shown]
	v_fmac_f32_e32 v2, 0x3f737871, v1
	v_fmac_f32_e32 v4, 0xbf167918, v3
	v_add_f32_e32 v6, v6, v8
	v_fmac_f32_e32 v2, 0x3f167918, v3
	v_fmac_f32_e32 v4, 0x3e9e377a, v6
	;; [unrolled: 1-line block ×3, first 2 shown]
	v_add_f32_e32 v6, v73, v5
	v_mul_f32_e32 v0, v11, v66
	v_fma_f32 v6, -0.5, v6, v48
	v_fma_f32 v63, v10, v67, -v0
	v_add_f32_e32 v0, v48, v73
	v_mov_b32_e32 v8, v6
	v_mul_f32_e32 v15, v11, v67
	v_add_f32_e32 v0, v0, v53
	v_fmac_f32_e32 v8, 0x3f737871, v3
	v_fmac_f32_e32 v6, 0xbf737871, v3
	v_add_f32_e32 v3, v56, v57
	v_fmac_f32_e32 v15, v10, v66
	v_add_f32_e32 v0, v0, v7
	v_sub_f32_e32 v9, v53, v73
	v_sub_f32_e32 v10, v7, v5
	v_fma_f32 v3, -0.5, v3, v49
	v_add_f32_e32 v0, v0, v5
	v_fmac_f32_e32 v8, 0xbf167918, v1
	v_add_f32_e32 v9, v9, v10
	v_fmac_f32_e32 v6, 0x3f167918, v1
	v_sub_f32_e32 v10, v73, v5
	v_mov_b32_e32 v5, v3
	v_fmac_f32_e32 v8, 0x3e9e377a, v9
	v_fmac_f32_e32 v6, 0x3e9e377a, v9
	;; [unrolled: 1-line block ×3, first 2 shown]
	v_sub_f32_e32 v11, v53, v7
	v_sub_f32_e32 v7, v52, v56
	;; [unrolled: 1-line block ×3, first 2 shown]
	v_fmac_f32_e32 v3, 0xbf737871, v10
	v_fmac_f32_e32 v5, 0x3f167918, v11
	v_add_f32_e32 v7, v7, v9
	v_fmac_f32_e32 v3, 0xbf167918, v11
	v_fmac_f32_e32 v5, 0x3e9e377a, v7
	v_fmac_f32_e32 v3, 0x3e9e377a, v7
	v_add_f32_e32 v7, v52, v60
	v_fma_f32 v7, -0.5, v7, v49
	v_mov_b32_e32 v9, v7
	v_fmac_f32_e32 v9, 0xbf737871, v11
	v_sub_f32_e32 v12, v56, v52
	v_sub_f32_e32 v13, v57, v60
	v_fmac_f32_e32 v7, 0x3f737871, v11
	v_fmac_f32_e32 v9, 0x3f167918, v10
	v_add_f32_e32 v12, v12, v13
	v_fmac_f32_e32 v7, 0xbf167918, v10
	v_add_f32_e32 v11, v55, v59
	v_fmac_f32_e32 v9, 0x3e9e377a, v12
	v_fmac_f32_e32 v7, 0x3e9e377a, v12
	v_fma_f32 v12, -0.5, v11, v50
	v_sub_f32_e32 v11, v54, v63
	v_mov_b32_e32 v14, v12
	v_add_f32_e32 v1, v49, v52
	v_fmac_f32_e32 v14, 0xbf737871, v11
	v_sub_f32_e32 v13, v58, v62
	v_sub_f32_e32 v48, v61, v55
	;; [unrolled: 1-line block ×3, first 2 shown]
	v_fmac_f32_e32 v12, 0x3f737871, v11
	v_fmac_f32_e32 v14, 0xbf167918, v13
	v_add_f32_e32 v48, v48, v49
	v_fmac_f32_e32 v12, 0x3f167918, v13
	v_fmac_f32_e32 v14, 0x3e9e377a, v48
	;; [unrolled: 1-line block ×3, first 2 shown]
	v_add_f32_e32 v48, v61, v15
	v_add_f32_e32 v10, v50, v61
	v_fma_f32 v50, -0.5, v48, v50
	v_mov_b32_e32 v48, v50
	v_add_f32_e32 v10, v10, v55
	v_fmac_f32_e32 v48, 0x3f737871, v13
	v_fmac_f32_e32 v50, 0xbf737871, v13
	v_add_f32_e32 v13, v58, v62
	v_add_f32_e32 v10, v10, v59
	v_sub_f32_e32 v49, v55, v61
	v_sub_f32_e32 v52, v59, v15
	v_fma_f32 v13, -0.5, v13, v51
	v_add_f32_e32 v10, v10, v15
	v_fmac_f32_e32 v48, 0xbf167918, v11
	v_add_f32_e32 v49, v49, v52
	v_fmac_f32_e32 v50, 0x3f167918, v11
	v_sub_f32_e32 v52, v61, v15
	v_mov_b32_e32 v15, v13
	v_fmac_f32_e32 v48, 0x3e9e377a, v49
	v_fmac_f32_e32 v50, 0x3e9e377a, v49
	;; [unrolled: 1-line block ×3, first 2 shown]
	v_sub_f32_e32 v53, v55, v59
	v_sub_f32_e32 v49, v54, v58
	v_sub_f32_e32 v55, v63, v62
	v_fmac_f32_e32 v13, 0xbf737871, v52
	v_fmac_f32_e32 v15, 0x3f167918, v53
	v_add_f32_e32 v49, v49, v55
	v_fmac_f32_e32 v13, 0xbf167918, v53
	v_fmac_f32_e32 v15, 0x3e9e377a, v49
	;; [unrolled: 1-line block ×3, first 2 shown]
	v_add_f32_e32 v49, v54, v63
	v_add_f32_e32 v11, v51, v54
	v_fmac_f32_e32 v51, -0.5, v49
	v_mov_b32_e32 v49, v51
	v_add_f32_e32 v1, v1, v56
	v_add_f32_e32 v11, v11, v58
	v_fmac_f32_e32 v49, 0xbf737871, v53
	v_sub_f32_e32 v54, v58, v54
	v_sub_f32_e32 v55, v62, v63
	v_fmac_f32_e32 v51, 0x3f737871, v53
	v_add_f32_e32 v1, v1, v57
	v_add_f32_e32 v11, v11, v62
	v_fmac_f32_e32 v49, 0x3f167918, v52
	v_add_f32_e32 v54, v54, v55
	v_fmac_f32_e32 v51, 0xbf167918, v52
	v_add_f32_e32 v1, v1, v60
	v_add_f32_e32 v11, v11, v63
	v_fmac_f32_e32 v49, 0x3e9e377a, v54
	v_fmac_f32_e32 v51, 0x3e9e377a, v54
	s_barrier
	ds_write2_b64 v85, v[0:1], v[4:5] offset1:13
	ds_write2_b64 v85, v[8:9], v[6:7] offset0:26 offset1:39
	ds_write_b64 v85, v[2:3] offset:416
	ds_write2_b64 v86, v[10:11], v[14:15] offset1:13
	ds_write2_b64 v86, v[48:49], v[50:51] offset0:26 offset1:39
	ds_write_b64 v86, v[12:13] offset:416
	s_waitcnt lgkmcnt(0)
	s_barrier
	ds_read2_b64 v[0:3], v83 offset1:195
	ds_read2_b64 v[4:7], v68 offset0:6 offset1:201
	ds_read2_b64 v[8:11], v69 offset0:12 offset1:207
	;; [unrolled: 1-line block ×4, first 2 shown]
	s_waitcnt lgkmcnt(4)
	v_mul_f32_e32 v52, v29, v3
	v_fmac_f32_e32 v52, v28, v2
	v_mul_f32_e32 v2, v29, v2
	v_fma_f32 v28, v28, v3, -v2
	s_waitcnt lgkmcnt(3)
	v_mul_f32_e32 v2, v31, v5
	v_mul_f32_e32 v3, v31, v4
	v_fmac_f32_e32 v2, v30, v4
	v_fma_f32 v3, v30, v5, -v3
	v_mul_f32_e32 v4, v25, v7
	v_mul_f32_e32 v5, v25, v6
	v_fmac_f32_e32 v4, v24, v6
	v_fma_f32 v5, v24, v7, -v5
	s_waitcnt lgkmcnt(2)
	v_mul_f32_e32 v6, v27, v9
	v_mul_f32_e32 v7, v27, v8
	v_fmac_f32_e32 v6, v26, v8
	v_fma_f32 v7, v26, v9, -v7
	v_mul_f32_e32 v8, v21, v11
	v_mul_f32_e32 v9, v21, v10
	v_fmac_f32_e32 v8, v20, v10
	;; [unrolled: 9-line block ×3, first 2 shown]
	v_fma_f32 v13, v16, v15, -v13
	s_waitcnt lgkmcnt(0)
	v_mul_f32_e32 v14, v19, v49
	v_mul_f32_e32 v15, v19, v48
	v_add_f32_e32 v19, v6, v10
	v_fma_f32 v15, v18, v49, -v15
	v_fma_f32 v19, -0.5, v19, v0
	v_fmac_f32_e32 v14, v18, v48
	v_sub_f32_e32 v20, v3, v15
	v_mov_b32_e32 v21, v19
	v_fmac_f32_e32 v21, 0xbf737871, v20
	v_sub_f32_e32 v22, v7, v11
	v_sub_f32_e32 v23, v2, v6
	;; [unrolled: 1-line block ×3, first 2 shown]
	v_fmac_f32_e32 v19, 0x3f737871, v20
	v_fmac_f32_e32 v21, 0xbf167918, v22
	v_add_f32_e32 v23, v23, v24
	v_fmac_f32_e32 v19, 0x3f167918, v22
	v_fmac_f32_e32 v21, 0x3e9e377a, v23
	;; [unrolled: 1-line block ×3, first 2 shown]
	v_add_f32_e32 v23, v2, v14
	v_fma_f32 v23, -0.5, v23, v0
	v_mov_b32_e32 v24, v23
	v_add_f32_e32 v18, v0, v2
	v_fmac_f32_e32 v24, 0x3f737871, v22
	v_sub_f32_e32 v0, v6, v2
	v_sub_f32_e32 v25, v10, v14
	v_fmac_f32_e32 v23, 0xbf737871, v22
	v_fmac_f32_e32 v24, 0xbf167918, v20
	v_add_f32_e32 v0, v0, v25
	v_fmac_f32_e32 v23, 0x3f167918, v20
	v_fmac_f32_e32 v24, 0x3e9e377a, v0
	;; [unrolled: 1-line block ×3, first 2 shown]
	v_add_f32_e32 v0, v1, v3
	v_add_f32_e32 v0, v0, v7
	;; [unrolled: 1-line block ×5, first 2 shown]
	v_fma_f32 v22, -0.5, v0, v1
	v_add_f32_e32 v18, v18, v6
	v_sub_f32_e32 v0, v2, v14
	v_mov_b32_e32 v25, v22
	v_add_f32_e32 v18, v18, v10
	v_fmac_f32_e32 v25, 0x3f737871, v0
	v_sub_f32_e32 v2, v6, v10
	v_sub_f32_e32 v6, v3, v7
	;; [unrolled: 1-line block ×3, first 2 shown]
	v_fmac_f32_e32 v22, 0xbf737871, v0
	v_fmac_f32_e32 v25, 0x3f167918, v2
	v_add_f32_e32 v6, v6, v10
	v_fmac_f32_e32 v22, 0xbf167918, v2
	v_fmac_f32_e32 v25, 0x3e9e377a, v6
	;; [unrolled: 1-line block ×3, first 2 shown]
	v_add_f32_e32 v6, v3, v15
	v_fma_f32 v26, -0.5, v6, v1
	v_mov_b32_e32 v27, v26
	v_fmac_f32_e32 v27, 0xbf737871, v2
	v_fmac_f32_e32 v26, 0x3f737871, v2
	;; [unrolled: 1-line block ×4, first 2 shown]
	v_add_f32_e32 v0, v52, v4
	v_mul_f32_e32 v16, v76, v51
	v_add_f32_e32 v0, v0, v8
	v_fmac_f32_e32 v16, v75, v50
	v_add_f32_e32 v0, v0, v12
	v_mul_f32_e32 v17, v76, v50
	v_add_f32_e32 v10, v0, v16
	v_add_f32_e32 v0, v8, v12
	v_fma_f32 v17, v75, v51, -v17
	v_sub_f32_e32 v1, v7, v3
	v_sub_f32_e32 v3, v11, v15
	v_fma_f32 v11, -0.5, v0, v52
	v_add_f32_e32 v1, v1, v3
	v_sub_f32_e32 v0, v5, v17
	v_mov_b32_e32 v3, v11
	v_fmac_f32_e32 v27, 0x3e9e377a, v1
	v_fmac_f32_e32 v26, 0x3e9e377a, v1
	;; [unrolled: 1-line block ×3, first 2 shown]
	v_sub_f32_e32 v1, v9, v13
	v_sub_f32_e32 v2, v4, v8
	;; [unrolled: 1-line block ×3, first 2 shown]
	v_fmac_f32_e32 v11, 0x3f737871, v0
	v_fmac_f32_e32 v3, 0xbf167918, v1
	v_add_f32_e32 v2, v2, v6
	v_fmac_f32_e32 v11, 0x3f167918, v1
	v_fmac_f32_e32 v3, 0x3e9e377a, v2
	;; [unrolled: 1-line block ×3, first 2 shown]
	v_add_f32_e32 v2, v4, v16
	v_fmac_f32_e32 v52, -0.5, v2
	v_mov_b32_e32 v7, v52
	v_fmac_f32_e32 v7, 0x3f737871, v1
	v_fmac_f32_e32 v52, 0xbf737871, v1
	;; [unrolled: 1-line block ×4, first 2 shown]
	v_add_f32_e32 v0, v28, v5
	v_add_f32_e32 v0, v0, v9
	;; [unrolled: 1-line block ×6, first 2 shown]
	v_sub_f32_e32 v2, v8, v4
	v_sub_f32_e32 v6, v12, v16
	v_fma_f32 v14, -0.5, v0, v28
	v_add_f32_e32 v2, v2, v6
	v_sub_f32_e32 v0, v4, v16
	v_mov_b32_e32 v16, v14
	v_fmac_f32_e32 v7, 0x3e9e377a, v2
	v_fmac_f32_e32 v52, 0x3e9e377a, v2
	;; [unrolled: 1-line block ×3, first 2 shown]
	v_sub_f32_e32 v1, v8, v12
	v_sub_f32_e32 v2, v5, v9
	;; [unrolled: 1-line block ×3, first 2 shown]
	v_fmac_f32_e32 v14, 0xbf737871, v0
	v_fmac_f32_e32 v16, 0x3f167918, v1
	v_add_f32_e32 v2, v2, v4
	v_fmac_f32_e32 v14, 0xbf167918, v1
	v_fmac_f32_e32 v16, 0x3e9e377a, v2
	;; [unrolled: 1-line block ×3, first 2 shown]
	v_add_f32_e32 v2, v5, v17
	v_fmac_f32_e32 v28, -0.5, v2
	v_mov_b32_e32 v12, v28
	v_fmac_f32_e32 v12, 0xbf737871, v1
	v_sub_f32_e32 v2, v9, v5
	v_sub_f32_e32 v4, v13, v17
	v_fmac_f32_e32 v28, 0x3f737871, v1
	v_fmac_f32_e32 v12, 0x3f167918, v0
	v_add_f32_e32 v2, v2, v4
	v_fmac_f32_e32 v28, 0xbf167918, v0
	v_fmac_f32_e32 v12, 0x3e9e377a, v2
	;; [unrolled: 1-line block ×3, first 2 shown]
	v_mul_f32_e32 v13, 0xbf167918, v16
	v_mul_f32_e32 v31, 0x3f4f1bbd, v16
	v_fmac_f32_e32 v13, 0x3f4f1bbd, v3
	v_mul_f32_e32 v17, 0xbf737871, v12
	v_mul_f32_e32 v29, 0xbf737871, v28
	;; [unrolled: 1-line block ×3, first 2 shown]
	v_fmac_f32_e32 v31, 0x3f167918, v3
	v_mul_f32_e32 v48, 0x3e9e377a, v12
	v_mul_f32_e32 v28, 0xbe9e377a, v28
	;; [unrolled: 1-line block ×3, first 2 shown]
	v_add_f32_e32 v0, v18, v10
	v_add_f32_e32 v2, v21, v13
	v_fmac_f32_e32 v17, 0x3e9e377a, v7
	v_fmac_f32_e32 v29, 0xbe9e377a, v52
	;; [unrolled: 1-line block ×3, first 2 shown]
	v_add_f32_e32 v1, v20, v15
	v_add_f32_e32 v3, v25, v31
	v_fmac_f32_e32 v48, 0x3f737871, v7
	v_fmac_f32_e32 v28, 0x3f737871, v52
	;; [unrolled: 1-line block ×3, first 2 shown]
	v_add_f32_e32 v4, v24, v17
	v_add_f32_e32 v6, v23, v29
	;; [unrolled: 1-line block ×6, first 2 shown]
	v_sub_f32_e32 v10, v18, v10
	v_sub_f32_e32 v11, v20, v15
	s_barrier
	ds_write2_b64 v87, v[0:1], v[2:3] offset1:65
	ds_write2_b64 v87, v[4:5], v[6:7] offset0:130 offset1:195
	v_add_u32_e32 v0, 0x800, v87
	v_sub_f32_e32 v14, v21, v13
	v_sub_f32_e32 v16, v24, v17
	;; [unrolled: 1-line block ×8, first 2 shown]
	ds_write2_b64 v0, v[8:9], v[10:11] offset0:4 offset1:69
	ds_write2_b64 v0, v[14:15], v[16:17] offset0:134 offset1:199
	v_add_u32_e32 v0, 0x1000, v87
	v_add_u32_e32 v20, 0x1400, v83
	;; [unrolled: 1-line block ×3, first 2 shown]
	ds_write2_b64 v0, v[18:19], v[12:13] offset0:8 offset1:73
	s_waitcnt lgkmcnt(0)
	s_barrier
	ds_read2_b64 v[0:3], v83 offset1:195
	ds_read2_b64 v[8:11], v20 offset0:10 offset1:205
	ds_read2_b64 v[4:7], v21 offset0:20 offset1:215
	ds_read_b64 v[14:15], v83 offset:3120
	ds_read_b64 v[18:19], v83 offset:8320
	ds_read_b64 v[16:17], v83 offset:13520
	s_and_saveexec_b64 s[4:5], s[2:3]
	s_cbranch_execz .LBB0_19
; %bb.18:
	ds_read_b64 v[12:13], v83 offset:4680
	ds_read_b64 v[79:80], v83 offset:9880
	ds_read_b64 v[77:78], v83 offset:15080
.LBB0_19:
	s_or_b64 exec, exec, s[4:5]
	s_waitcnt lgkmcnt(4)
	v_mul_f32_e32 v22, v37, v9
	v_fmac_f32_e32 v22, v36, v8
	v_mul_f32_e32 v8, v37, v8
	v_fma_f32 v8, v36, v9, -v8
	s_waitcnt lgkmcnt(3)
	v_mul_f32_e32 v9, v39, v5
	v_fmac_f32_e32 v9, v38, v4
	v_mul_f32_e32 v4, v39, v4
	v_fma_f32 v23, v38, v5, -v4
	v_mul_f32_e32 v4, v45, v10
	v_mul_f32_e32 v24, v45, v11
	v_fma_f32 v11, v44, v11, -v4
	v_mul_f32_e32 v4, v47, v6
	v_fma_f32 v26, v46, v7, -v4
	s_waitcnt lgkmcnt(1)
	v_mul_f32_e32 v4, v41, v18
	v_mul_f32_e32 v27, v41, v19
	v_fma_f32 v19, v40, v19, -v4
	s_waitcnt lgkmcnt(0)
	v_mul_f32_e32 v4, v43, v16
	v_add_f32_e32 v5, v22, v9
	v_mul_f32_e32 v25, v47, v7
	v_fma_f32 v29, v42, v17, -v4
	v_add_f32_e32 v4, v0, v22
	v_fma_f32 v0, -0.5, v5, v0
	v_fmac_f32_e32 v25, v46, v6
	v_sub_f32_e32 v5, v8, v23
	v_mov_b32_e32 v6, v0
	v_add_f32_e32 v7, v8, v23
	v_fmac_f32_e32 v24, v44, v10
	v_fmac_f32_e32 v6, 0xbf5db3d7, v5
	v_fmac_f32_e32 v0, 0x3f5db3d7, v5
	v_add_f32_e32 v5, v1, v8
	v_fma_f32 v1, -0.5, v7, v1
	v_add_f32_e32 v4, v4, v9
	v_sub_f32_e32 v8, v22, v9
	v_mov_b32_e32 v7, v1
	v_add_f32_e32 v9, v24, v25
	v_fmac_f32_e32 v7, 0x3f5db3d7, v8
	v_fmac_f32_e32 v1, 0xbf5db3d7, v8
	v_add_f32_e32 v8, v2, v24
	v_fma_f32 v2, -0.5, v9, v2
	v_sub_f32_e32 v9, v11, v26
	v_mov_b32_e32 v10, v2
	v_mul_f32_e32 v28, v43, v17
	v_fmac_f32_e32 v10, 0xbf5db3d7, v9
	v_fmac_f32_e32 v2, 0x3f5db3d7, v9
	v_add_f32_e32 v9, v3, v11
	v_add_f32_e32 v11, v11, v26
	v_fmac_f32_e32 v27, v40, v18
	v_fmac_f32_e32 v28, v42, v16
	v_fmac_f32_e32 v3, -0.5, v11
	v_sub_f32_e32 v16, v24, v25
	v_mov_b32_e32 v11, v3
	v_add_f32_e32 v17, v27, v28
	v_fmac_f32_e32 v11, 0x3f5db3d7, v16
	v_fmac_f32_e32 v3, 0xbf5db3d7, v16
	v_add_f32_e32 v16, v14, v27
	v_fma_f32 v14, -0.5, v17, v14
	v_sub_f32_e32 v17, v19, v29
	v_mov_b32_e32 v18, v14
	v_fmac_f32_e32 v18, 0xbf5db3d7, v17
	v_fmac_f32_e32 v14, 0x3f5db3d7, v17
	v_add_f32_e32 v17, v15, v19
	v_add_f32_e32 v19, v19, v29
	v_fmac_f32_e32 v15, -0.5, v19
	v_add_f32_e32 v5, v5, v23
	v_add_f32_e32 v8, v8, v25
	;; [unrolled: 1-line block ×3, first 2 shown]
	v_sub_f32_e32 v22, v27, v28
	v_mov_b32_e32 v19, v15
	v_add_f32_e32 v16, v16, v28
	v_add_f32_e32 v17, v17, v29
	v_fmac_f32_e32 v19, 0x3f5db3d7, v22
	v_fmac_f32_e32 v15, 0xbf5db3d7, v22
	ds_write2_b64 v83, v[4:5], v[8:9] offset1:195
	ds_write2_b64 v20, v[6:7], v[10:11] offset0:10 offset1:205
	ds_write2_b64 v21, v[0:1], v[2:3] offset0:20 offset1:215
	ds_write_b64 v83, v[16:17] offset:3120
	ds_write_b64 v83, v[18:19] offset:8320
	;; [unrolled: 1-line block ×3, first 2 shown]
	s_and_saveexec_b64 s[4:5], s[2:3]
	s_cbranch_execz .LBB0_21
; %bb.20:
	v_mul_f32_e32 v0, v33, v79
	v_fma_f32 v2, v32, v80, -v0
	v_mul_f32_e32 v0, v35, v77
	v_fma_f32 v4, v34, v78, -v0
	v_add_f32_e32 v0, v2, v4
	v_mul_f32_e32 v6, v33, v80
	v_mul_f32_e32 v7, v35, v78
	v_fma_f32 v1, -0.5, v0, v13
	v_fmac_f32_e32 v6, v32, v79
	v_fmac_f32_e32 v7, v34, v77
	v_sub_f32_e32 v0, v6, v7
	v_mov_b32_e32 v3, v1
	v_fmac_f32_e32 v3, 0xbf5db3d7, v0
	v_fmac_f32_e32 v1, 0x3f5db3d7, v0
	v_add_f32_e32 v0, v13, v2
	v_add_f32_e32 v5, v0, v4
	;; [unrolled: 1-line block ×3, first 2 shown]
	v_fma_f32 v0, -0.5, v0, v12
	v_sub_f32_e32 v4, v2, v4
	v_mov_b32_e32 v2, v0
	v_fmac_f32_e32 v2, 0x3f5db3d7, v4
	v_fmac_f32_e32 v0, 0xbf5db3d7, v4
	v_add_f32_e32 v4, v12, v6
	v_add_f32_e32 v4, v4, v7
	ds_write_b64 v83, v[4:5] offset:4680
	ds_write_b64 v83, v[0:1] offset:9880
	;; [unrolled: 1-line block ×3, first 2 shown]
.LBB0_21:
	s_or_b64 exec, exec, s[4:5]
	s_waitcnt lgkmcnt(0)
	s_barrier
	s_and_b64 exec, exec, s[0:1]
	s_cbranch_execz .LBB0_23
; %bb.22:
	global_load_dwordx2 v[8:9], v81, s[12:13]
	global_load_dwordx2 v[10:11], v81, s[12:13] offset:1200
	global_load_dwordx2 v[12:13], v81, s[12:13] offset:2400
	;; [unrolled: 1-line block ×3, first 2 shown]
	v_mov_b32_e32 v0, s13
	v_add_co_u32_e32 v37, vcc, s12, v81
	s_movk_i32 s5, 0x1000
	v_addc_co_u32_e32 v38, vcc, 0, v0, vcc
	v_add_co_u32_e32 v22, vcc, s5, v37
	v_addc_co_u32_e32 v23, vcc, 0, v38, vcc
	global_load_dwordx2 v[24:25], v[22:23], off offset:704
	ds_read_b64 v[18:19], v83
	v_mad_u64_u32 v[16:17], s[0:1], s10, v72, 0
	v_mad_u64_u32 v[20:21], s[2:3], s8, v82, 0
	s_mul_i32 s3, s9, 0x4b0
	s_mul_hi_u32 s4, s8, 0x4b0
	v_mov_b32_e32 v36, s7
	s_movk_i32 s7, 0x2000
	s_add_i32 s3, s4, s3
	s_waitcnt lgkmcnt(0)
	v_mad_u64_u32 v[28:29], s[4:5], s11, v72, v[17:18]
	v_add_u32_e32 v1, 0x400, v81
	v_add_u32_e32 v4, 0xc00, v81
	v_add_co_u32_e32 v26, vcc, s7, v37
	v_mad_u64_u32 v[29:30], s[4:5], s9, v82, v[21:22]
	ds_read2_b64 v[0:3], v1 offset0:22 offset1:172
	ds_read2_b64 v[4:7], v4 offset0:66 offset1:216
	v_addc_co_u32_e32 v27, vcc, 0, v38, vcc
	global_load_dwordx2 v[30:31], v[22:23], off offset:1904
	global_load_dwordx2 v[32:33], v[22:23], off offset:3104
	;; [unrolled: 1-line block ×3, first 2 shown]
	v_mov_b32_e32 v17, v28
	s_mov_b32 s0, 0xaa677344
	s_mov_b32 s1, 0x3f40cdd9
	v_mov_b32_e32 v21, v29
	v_lshlrev_b64 v[16:17], 3, v[16:17]
	v_lshlrev_b64 v[20:21], 3, v[20:21]
	v_add_co_u32_e32 v16, vcc, s6, v16
	v_addc_co_u32_e32 v17, vcc, v36, v17, vcc
	v_add_co_u32_e32 v16, vcc, v16, v20
	s_mul_i32 s2, s8, 0x4b0
	v_addc_co_u32_e32 v17, vcc, v17, v21, vcc
	v_mov_b32_e32 v39, s3
	v_add_co_u32_e32 v20, vcc, s2, v16
	v_addc_co_u32_e32 v21, vcc, v17, v39, vcc
	s_movk_i32 s4, 0x3000
	s_waitcnt vmcnt(7)
	v_mul_f32_e32 v22, v19, v9
	v_mul_f32_e32 v9, v18, v9
	s_waitcnt vmcnt(6) lgkmcnt(1)
	v_mul_f32_e32 v23, v1, v11
	v_mul_f32_e32 v11, v0, v11
	s_waitcnt vmcnt(5)
	v_mul_f32_e32 v28, v3, v13
	v_mul_f32_e32 v13, v2, v13
	v_fmac_f32_e32 v22, v18, v8
	v_fma_f32 v8, v8, v19, -v9
	v_fmac_f32_e32 v23, v0, v10
	v_fma_f32 v10, v10, v1, -v11
	;; [unrolled: 2-line block ×3, first 2 shown]
	v_cvt_f64_f32_e32 v[0:1], v22
	v_cvt_f64_f32_e32 v[2:3], v8
	;; [unrolled: 1-line block ×6, first 2 shown]
	v_mul_f64 v[0:1], v[0:1], s[0:1]
	v_mul_f64 v[2:3], v[2:3], s[0:1]
	;; [unrolled: 1-line block ×3, first 2 shown]
	s_waitcnt vmcnt(4) lgkmcnt(0)
	v_mul_f32_e32 v29, v5, v15
	v_mul_f32_e32 v15, v4, v15
	v_mul_f64 v[10:11], v[10:11], s[0:1]
	v_fmac_f32_e32 v29, v4, v14
	v_fma_f32 v22, v14, v5, -v15
	v_mul_f64 v[4:5], v[12:13], s[0:1]
	v_mul_f64 v[14:15], v[18:19], s[0:1]
	v_cvt_f32_f64_e32 v0, v[0:1]
	v_cvt_f32_f64_e32 v1, v[2:3]
	;; [unrolled: 1-line block ×3, first 2 shown]
	v_cvt_f64_f32_e32 v[8:9], v22
	v_cvt_f32_f64_e32 v3, v[10:11]
	global_store_dwordx2 v[16:17], v[0:1], off
	global_store_dwordx2 v[20:21], v[2:3], off
	v_cvt_f32_f64_e32 v4, v[4:5]
	v_cvt_f32_f64_e32 v5, v[14:15]
	v_mov_b32_e32 v10, s3
	v_mul_f64 v[2:3], v[8:9], s[0:1]
	v_add_co_u32_e32 v8, vcc, s2, v20
	v_cvt_f64_f32_e32 v[12:13], v29
	v_addc_co_u32_e32 v9, vcc, v21, v10, vcc
	global_store_dwordx2 v[8:9], v[4:5], off
	global_load_dwordx2 v[4:5], v[26:27], off offset:1408
	v_mul_f64 v[0:1], v[12:13], s[0:1]
	global_load_dwordx2 v[14:15], v[26:27], off offset:2608
	s_waitcnt vmcnt(8)
	v_mul_f32_e32 v10, v7, v25
	v_fmac_f32_e32 v10, v6, v24
	v_cvt_f64_f32_e32 v[10:11], v10
	v_cvt_f32_f64_e32 v13, v[2:3]
	v_mov_b32_e32 v16, s3
	v_add_co_u32_e32 v8, vcc, s2, v8
	v_cvt_f32_f64_e32 v12, v[0:1]
	v_mul_f64 v[10:11], v[10:11], s[0:1]
	v_mul_f32_e32 v0, v6, v25
	v_fma_f32 v0, v24, v7, -v0
	v_cvt_f64_f32_e32 v[6:7], v0
	v_add_u32_e32 v0, 0x1600, v81
	ds_read2_b64 v[0:3], v0 offset0:46 offset1:196
	v_addc_co_u32_e32 v9, vcc, v9, v16, vcc
	v_mul_f64 v[6:7], v[6:7], s[0:1]
	v_cvt_f32_f64_e32 v10, v[10:11]
	s_waitcnt vmcnt(7) lgkmcnt(0)
	v_mul_f32_e32 v11, v1, v31
	v_fmac_f32_e32 v11, v0, v30
	global_store_dwordx2 v[8:9], v[12:13], off
	v_cvt_f64_f32_e32 v[12:13], v11
	v_add_co_u32_e32 v8, vcc, s2, v8
	v_cvt_f32_f64_e32 v11, v[6:7]
	v_mul_f64 v[6:7], v[12:13], s[0:1]
	global_load_dwordx2 v[12:13], v[26:27], off offset:3808
	v_addc_co_u32_e32 v9, vcc, v9, v16, vcc
	v_add_co_u32_e32 v16, vcc, s4, v37
	v_addc_co_u32_e32 v17, vcc, 0, v38, vcc
	global_load_dwordx2 v[18:19], v[16:17], off offset:912
	v_mul_f32_e32 v0, v0, v31
	v_fma_f32 v0, v30, v1, -v0
	v_cvt_f64_f32_e32 v[0:1], v0
	v_cvt_f32_f64_e32 v6, v[6:7]
	global_store_dwordx2 v[8:9], v[10:11], off
	v_mov_b32_e32 v22, s3
	v_mul_f64 v[0:1], v[0:1], s[0:1]
	v_add_co_u32_e32 v8, vcc, s2, v8
	v_addc_co_u32_e32 v9, vcc, v9, v22, vcc
	v_cvt_f32_f64_e32 v7, v[0:1]
	s_waitcnt vmcnt(10)
	v_mul_f32_e32 v0, v3, v33
	v_fmac_f32_e32 v0, v2, v32
	v_cvt_f64_f32_e32 v[10:11], v0
	v_mul_f32_e32 v0, v2, v33
	v_fma_f32 v0, v32, v3, -v0
	v_cvt_f64_f32_e32 v[20:21], v0
	v_add_u32_e32 v0, 0x2000, v81
	ds_read2_b64 v[0:3], v0 offset0:26 offset1:176
	global_store_dwordx2 v[8:9], v[6:7], off
	v_mul_f64 v[6:7], v[10:11], s[0:1]
	v_mul_f64 v[10:11], v[20:21], s[0:1]
	v_add_co_u32_e32 v8, vcc, s2, v8
	s_waitcnt vmcnt(10) lgkmcnt(0)
	v_mul_f32_e32 v20, v1, v35
	v_fmac_f32_e32 v20, v0, v34
	v_mul_f32_e32 v0, v0, v35
	v_fma_f32 v0, v34, v1, -v0
	v_cvt_f64_f32_e32 v[0:1], v0
	v_cvt_f64_f32_e32 v[20:21], v20
	v_cvt_f32_f64_e32 v6, v[6:7]
	v_cvt_f32_f64_e32 v7, v[10:11]
	v_mul_f64 v[0:1], v[0:1], s[0:1]
	v_mul_f64 v[10:11], v[20:21], s[0:1]
	v_mov_b32_e32 v20, s3
	v_addc_co_u32_e32 v9, vcc, v9, v20, vcc
	global_store_dwordx2 v[8:9], v[6:7], off
	v_add_co_u32_e32 v8, vcc, s2, v8
	v_cvt_f32_f64_e32 v7, v[0:1]
	s_waitcnt vmcnt(7)
	v_mul_f32_e32 v0, v3, v5
	v_fmac_f32_e32 v0, v2, v4
	v_cvt_f32_f64_e32 v6, v[10:11]
	v_cvt_f64_f32_e32 v[10:11], v0
	v_mul_f32_e32 v0, v2, v5
	v_fma_f32 v0, v4, v3, -v0
	v_cvt_f64_f32_e32 v[4:5], v0
	v_add_u32_e32 v0, 0x2800, v81
	ds_read2_b64 v[0:3], v0 offset0:70 offset1:220
	v_addc_co_u32_e32 v9, vcc, v9, v20, vcc
	global_store_dwordx2 v[8:9], v[6:7], off
	v_mul_f64 v[6:7], v[10:11], s[0:1]
	v_mul_f64 v[4:5], v[4:5], s[0:1]
	s_waitcnt vmcnt(7) lgkmcnt(0)
	v_mul_f32_e32 v10, v1, v15
	v_fmac_f32_e32 v10, v0, v14
	v_mul_f32_e32 v0, v0, v15
	v_fma_f32 v0, v14, v1, -v0
	v_cvt_f64_f32_e32 v[10:11], v10
	v_cvt_f64_f32_e32 v[0:1], v0
	v_cvt_f32_f64_e32 v6, v[6:7]
	v_cvt_f32_f64_e32 v7, v[4:5]
	v_mul_f64 v[4:5], v[10:11], s[0:1]
	v_mul_f64 v[0:1], v[0:1], s[0:1]
	v_mov_b32_e32 v10, s3
	v_add_co_u32_e32 v8, vcc, s2, v8
	v_addc_co_u32_e32 v9, vcc, v9, v10, vcc
	global_store_dwordx2 v[8:9], v[6:7], off
	v_cvt_f32_f64_e32 v4, v[4:5]
	v_cvt_f32_f64_e32 v5, v[0:1]
	s_waitcnt vmcnt(6)
	v_mul_f32_e32 v0, v3, v13
	v_fmac_f32_e32 v0, v2, v12
	v_cvt_f64_f32_e32 v[6:7], v0
	v_mul_f32_e32 v0, v2, v13
	v_fma_f32 v0, v12, v3, -v0
	v_cvt_f64_f32_e32 v[10:11], v0
	v_add_u32_e32 v0, 0x3200, v81
	ds_read2_b64 v[0:3], v0 offset0:50 offset1:200
	v_mov_b32_e32 v14, s3
	v_add_co_u32_e32 v8, vcc, s2, v8
	v_addc_co_u32_e32 v9, vcc, v9, v14, vcc
	global_store_dwordx2 v[8:9], v[4:5], off
	v_mul_f64 v[4:5], v[6:7], s[0:1]
	v_mul_f64 v[6:7], v[10:11], s[0:1]
	s_waitcnt vmcnt(6) lgkmcnt(0)
	v_mul_f32_e32 v10, v1, v19
	v_fmac_f32_e32 v10, v0, v18
	v_mul_f32_e32 v0, v0, v19
	v_fma_f32 v0, v18, v1, -v0
	v_cvt_f64_f32_e32 v[10:11], v10
	v_cvt_f64_f32_e32 v[0:1], v0
	v_cvt_f32_f64_e32 v4, v[4:5]
	v_cvt_f32_f64_e32 v5, v[6:7]
	v_mul_f64 v[6:7], v[10:11], s[0:1]
	v_mul_f64 v[0:1], v[0:1], s[0:1]
	v_mov_b32_e32 v10, s3
	v_add_co_u32_e32 v8, vcc, s2, v8
	v_addc_co_u32_e32 v9, vcc, v9, v10, vcc
	global_store_dwordx2 v[8:9], v[4:5], off
	v_cvt_f32_f64_e32 v4, v[6:7]
	v_cvt_f32_f64_e32 v5, v[0:1]
	v_mov_b32_e32 v1, s3
	v_add_co_u32_e32 v0, vcc, s2, v8
	v_addc_co_u32_e32 v1, vcc, v9, v1, vcc
	global_store_dwordx2 v[0:1], v[4:5], off
	global_load_dwordx2 v[4:5], v[16:17], off offset:2112
	v_add_co_u32_e32 v0, vcc, s2, v0
	s_waitcnt vmcnt(0)
	v_mul_f32_e32 v6, v3, v5
	v_fmac_f32_e32 v6, v2, v4
	v_mul_f32_e32 v2, v2, v5
	v_fma_f32 v2, v4, v3, -v2
	v_cvt_f64_f32_e32 v[6:7], v6
	v_cvt_f64_f32_e32 v[2:3], v2
	v_mul_f64 v[4:5], v[6:7], s[0:1]
	v_mul_f64 v[2:3], v[2:3], s[0:1]
	v_cvt_f32_f64_e32 v4, v[4:5]
	v_cvt_f32_f64_e32 v5, v[2:3]
	v_mov_b32_e32 v2, s3
	v_addc_co_u32_e32 v1, vcc, v1, v2, vcc
	global_store_dwordx2 v[0:1], v[4:5], off
.LBB0_23:
	s_endpgm
	.section	.rodata,"a",@progbits
	.p2align	6, 0x0
	.amdhsa_kernel bluestein_single_fwd_len1950_dim1_sp_op_CI_CI
		.amdhsa_group_segment_fixed_size 15600
		.amdhsa_private_segment_fixed_size 0
		.amdhsa_kernarg_size 104
		.amdhsa_user_sgpr_count 6
		.amdhsa_user_sgpr_private_segment_buffer 1
		.amdhsa_user_sgpr_dispatch_ptr 0
		.amdhsa_user_sgpr_queue_ptr 0
		.amdhsa_user_sgpr_kernarg_segment_ptr 1
		.amdhsa_user_sgpr_dispatch_id 0
		.amdhsa_user_sgpr_flat_scratch_init 0
		.amdhsa_user_sgpr_private_segment_size 0
		.amdhsa_uses_dynamic_stack 0
		.amdhsa_system_sgpr_private_segment_wavefront_offset 0
		.amdhsa_system_sgpr_workgroup_id_x 1
		.amdhsa_system_sgpr_workgroup_id_y 0
		.amdhsa_system_sgpr_workgroup_id_z 0
		.amdhsa_system_sgpr_workgroup_info 0
		.amdhsa_system_vgpr_workitem_id 0
		.amdhsa_next_free_vgpr 203
		.amdhsa_next_free_sgpr 20
		.amdhsa_reserve_vcc 1
		.amdhsa_reserve_flat_scratch 0
		.amdhsa_float_round_mode_32 0
		.amdhsa_float_round_mode_16_64 0
		.amdhsa_float_denorm_mode_32 3
		.amdhsa_float_denorm_mode_16_64 3
		.amdhsa_dx10_clamp 1
		.amdhsa_ieee_mode 1
		.amdhsa_fp16_overflow 0
		.amdhsa_exception_fp_ieee_invalid_op 0
		.amdhsa_exception_fp_denorm_src 0
		.amdhsa_exception_fp_ieee_div_zero 0
		.amdhsa_exception_fp_ieee_overflow 0
		.amdhsa_exception_fp_ieee_underflow 0
		.amdhsa_exception_fp_ieee_inexact 0
		.amdhsa_exception_int_div_zero 0
	.end_amdhsa_kernel
	.text
.Lfunc_end0:
	.size	bluestein_single_fwd_len1950_dim1_sp_op_CI_CI, .Lfunc_end0-bluestein_single_fwd_len1950_dim1_sp_op_CI_CI
                                        ; -- End function
	.section	.AMDGPU.csdata,"",@progbits
; Kernel info:
; codeLenInByte = 15584
; NumSgprs: 24
; NumVgprs: 203
; ScratchSize: 0
; MemoryBound: 0
; FloatMode: 240
; IeeeMode: 1
; LDSByteSize: 15600 bytes/workgroup (compile time only)
; SGPRBlocks: 2
; VGPRBlocks: 50
; NumSGPRsForWavesPerEU: 24
; NumVGPRsForWavesPerEU: 203
; Occupancy: 1
; WaveLimiterHint : 1
; COMPUTE_PGM_RSRC2:SCRATCH_EN: 0
; COMPUTE_PGM_RSRC2:USER_SGPR: 6
; COMPUTE_PGM_RSRC2:TRAP_HANDLER: 0
; COMPUTE_PGM_RSRC2:TGID_X_EN: 1
; COMPUTE_PGM_RSRC2:TGID_Y_EN: 0
; COMPUTE_PGM_RSRC2:TGID_Z_EN: 0
; COMPUTE_PGM_RSRC2:TIDIG_COMP_CNT: 0
	.type	__hip_cuid_67b41733f9d1e379,@object ; @__hip_cuid_67b41733f9d1e379
	.section	.bss,"aw",@nobits
	.globl	__hip_cuid_67b41733f9d1e379
__hip_cuid_67b41733f9d1e379:
	.byte	0                               ; 0x0
	.size	__hip_cuid_67b41733f9d1e379, 1

	.ident	"AMD clang version 19.0.0git (https://github.com/RadeonOpenCompute/llvm-project roc-6.4.0 25133 c7fe45cf4b819c5991fe208aaa96edf142730f1d)"
	.section	".note.GNU-stack","",@progbits
	.addrsig
	.addrsig_sym __hip_cuid_67b41733f9d1e379
	.amdgpu_metadata
---
amdhsa.kernels:
  - .args:
      - .actual_access:  read_only
        .address_space:  global
        .offset:         0
        .size:           8
        .value_kind:     global_buffer
      - .actual_access:  read_only
        .address_space:  global
        .offset:         8
        .size:           8
        .value_kind:     global_buffer
      - .actual_access:  read_only
        .address_space:  global
        .offset:         16
        .size:           8
        .value_kind:     global_buffer
      - .actual_access:  read_only
        .address_space:  global
        .offset:         24
        .size:           8
        .value_kind:     global_buffer
      - .actual_access:  read_only
        .address_space:  global
        .offset:         32
        .size:           8
        .value_kind:     global_buffer
      - .offset:         40
        .size:           8
        .value_kind:     by_value
      - .address_space:  global
        .offset:         48
        .size:           8
        .value_kind:     global_buffer
      - .address_space:  global
        .offset:         56
        .size:           8
        .value_kind:     global_buffer
      - .address_space:  global
        .offset:         64
        .size:           8
        .value_kind:     global_buffer
      - .address_space:  global
        .offset:         72
        .size:           8
        .value_kind:     global_buffer
      - .offset:         80
        .size:           4
        .value_kind:     by_value
      - .address_space:  global
        .offset:         88
        .size:           8
        .value_kind:     global_buffer
      - .address_space:  global
        .offset:         96
        .size:           8
        .value_kind:     global_buffer
    .group_segment_fixed_size: 15600
    .kernarg_segment_align: 8
    .kernarg_segment_size: 104
    .language:       OpenCL C
    .language_version:
      - 2
      - 0
    .max_flat_workgroup_size: 195
    .name:           bluestein_single_fwd_len1950_dim1_sp_op_CI_CI
    .private_segment_fixed_size: 0
    .sgpr_count:     24
    .sgpr_spill_count: 0
    .symbol:         bluestein_single_fwd_len1950_dim1_sp_op_CI_CI.kd
    .uniform_work_group_size: 1
    .uses_dynamic_stack: false
    .vgpr_count:     203
    .vgpr_spill_count: 0
    .wavefront_size: 64
amdhsa.target:   amdgcn-amd-amdhsa--gfx906
amdhsa.version:
  - 1
  - 2
...

	.end_amdgpu_metadata
